;; amdgpu-corpus repo=ROCm/rocFFT kind=compiled arch=gfx906 opt=O3
	.text
	.amdgcn_target "amdgcn-amd-amdhsa--gfx906"
	.amdhsa_code_object_version 6
	.protected	fft_rtc_back_len4000_factors_10_10_10_4_wgs_200_tpt_200_halfLds_sp_op_CI_CI_sbrr_dirReg ; -- Begin function fft_rtc_back_len4000_factors_10_10_10_4_wgs_200_tpt_200_halfLds_sp_op_CI_CI_sbrr_dirReg
	.globl	fft_rtc_back_len4000_factors_10_10_10_4_wgs_200_tpt_200_halfLds_sp_op_CI_CI_sbrr_dirReg
	.p2align	8
	.type	fft_rtc_back_len4000_factors_10_10_10_4_wgs_200_tpt_200_halfLds_sp_op_CI_CI_sbrr_dirReg,@function
fft_rtc_back_len4000_factors_10_10_10_4_wgs_200_tpt_200_halfLds_sp_op_CI_CI_sbrr_dirReg: ; @fft_rtc_back_len4000_factors_10_10_10_4_wgs_200_tpt_200_halfLds_sp_op_CI_CI_sbrr_dirReg
; %bb.0:
	s_load_dwordx4 s[16:19], s[4:5], 0x18
	s_load_dwordx4 s[12:15], s[4:5], 0x0
	;; [unrolled: 1-line block ×3, first 2 shown]
	v_mul_u32_u24_e32 v1, 0x148, v0
	v_mov_b32_e32 v5, 0
	s_waitcnt lgkmcnt(0)
	s_load_dwordx2 s[20:21], s[16:17], 0x0
	s_load_dwordx2 s[2:3], s[18:19], 0x0
	v_cmp_lt_u64_e64 s[0:1], s[14:15], 2
	v_mov_b32_e32 v9, 0
	v_add_u32_sdwa v7, s6, v1 dst_sel:DWORD dst_unused:UNUSED_PAD src0_sel:DWORD src1_sel:WORD_1
	v_mov_b32_e32 v8, v5
	s_and_b64 vcc, exec, s[0:1]
	v_mov_b32_e32 v10, 0
	s_cbranch_vccnz .LBB0_8
; %bb.1:
	s_load_dwordx2 s[0:1], s[4:5], 0x10
	s_add_u32 s6, s18, 8
	s_addc_u32 s7, s19, 0
	s_add_u32 s22, s16, 8
	s_addc_u32 s23, s17, 0
	v_mov_b32_e32 v9, 0
	s_waitcnt lgkmcnt(0)
	s_add_u32 s24, s0, 8
	v_mov_b32_e32 v10, 0
	v_mov_b32_e32 v1, v9
	s_addc_u32 s25, s1, 0
	s_mov_b64 s[26:27], 1
	v_mov_b32_e32 v2, v10
.LBB0_2:                                ; =>This Inner Loop Header: Depth=1
	s_load_dwordx2 s[28:29], s[24:25], 0x0
                                        ; implicit-def: $vgpr3_vgpr4
	s_waitcnt lgkmcnt(0)
	v_or_b32_e32 v6, s29, v8
	v_cmp_ne_u64_e32 vcc, 0, v[5:6]
	s_and_saveexec_b64 s[0:1], vcc
	s_xor_b64 s[30:31], exec, s[0:1]
	s_cbranch_execz .LBB0_4
; %bb.3:                                ;   in Loop: Header=BB0_2 Depth=1
	v_cvt_f32_u32_e32 v3, s28
	v_cvt_f32_u32_e32 v4, s29
	s_sub_u32 s0, 0, s28
	s_subb_u32 s1, 0, s29
	v_mac_f32_e32 v3, 0x4f800000, v4
	v_rcp_f32_e32 v3, v3
	v_mul_f32_e32 v3, 0x5f7ffffc, v3
	v_mul_f32_e32 v4, 0x2f800000, v3
	v_trunc_f32_e32 v4, v4
	v_mac_f32_e32 v3, 0xcf800000, v4
	v_cvt_u32_f32_e32 v4, v4
	v_cvt_u32_f32_e32 v3, v3
	v_mul_lo_u32 v6, s0, v4
	v_mul_hi_u32 v11, s0, v3
	v_mul_lo_u32 v13, s1, v3
	v_mul_lo_u32 v12, s0, v3
	v_add_u32_e32 v6, v11, v6
	v_add_u32_e32 v6, v6, v13
	v_mul_hi_u32 v11, v3, v12
	v_mul_lo_u32 v13, v3, v6
	v_mul_hi_u32 v15, v3, v6
	v_mul_hi_u32 v14, v4, v12
	v_mul_lo_u32 v12, v4, v12
	v_mul_hi_u32 v16, v4, v6
	v_add_co_u32_e32 v11, vcc, v11, v13
	v_addc_co_u32_e32 v13, vcc, 0, v15, vcc
	v_mul_lo_u32 v6, v4, v6
	v_add_co_u32_e32 v11, vcc, v11, v12
	v_addc_co_u32_e32 v11, vcc, v13, v14, vcc
	v_addc_co_u32_e32 v12, vcc, 0, v16, vcc
	v_add_co_u32_e32 v6, vcc, v11, v6
	v_addc_co_u32_e32 v11, vcc, 0, v12, vcc
	v_add_co_u32_e32 v3, vcc, v3, v6
	v_addc_co_u32_e32 v4, vcc, v4, v11, vcc
	v_mul_lo_u32 v6, s0, v4
	v_mul_hi_u32 v11, s0, v3
	v_mul_lo_u32 v12, s1, v3
	v_mul_lo_u32 v13, s0, v3
	v_add_u32_e32 v6, v11, v6
	v_add_u32_e32 v6, v6, v12
	v_mul_lo_u32 v14, v3, v6
	v_mul_hi_u32 v15, v3, v13
	v_mul_hi_u32 v16, v3, v6
	;; [unrolled: 1-line block ×3, first 2 shown]
	v_mul_lo_u32 v13, v4, v13
	v_mul_hi_u32 v11, v4, v6
	v_add_co_u32_e32 v14, vcc, v15, v14
	v_addc_co_u32_e32 v15, vcc, 0, v16, vcc
	v_mul_lo_u32 v6, v4, v6
	v_add_co_u32_e32 v13, vcc, v14, v13
	v_addc_co_u32_e32 v12, vcc, v15, v12, vcc
	v_addc_co_u32_e32 v11, vcc, 0, v11, vcc
	v_add_co_u32_e32 v6, vcc, v12, v6
	v_addc_co_u32_e32 v11, vcc, 0, v11, vcc
	v_add_co_u32_e32 v6, vcc, v3, v6
	v_addc_co_u32_e32 v11, vcc, v4, v11, vcc
	v_mad_u64_u32 v[3:4], s[0:1], v7, v11, 0
	v_mul_hi_u32 v12, v7, v6
	v_add_co_u32_e32 v13, vcc, v12, v3
	v_addc_co_u32_e32 v14, vcc, 0, v4, vcc
	v_mad_u64_u32 v[3:4], s[0:1], v8, v6, 0
	v_mad_u64_u32 v[11:12], s[0:1], v8, v11, 0
	v_add_co_u32_e32 v3, vcc, v13, v3
	v_addc_co_u32_e32 v3, vcc, v14, v4, vcc
	v_addc_co_u32_e32 v4, vcc, 0, v12, vcc
	v_add_co_u32_e32 v6, vcc, v3, v11
	v_addc_co_u32_e32 v11, vcc, 0, v4, vcc
	v_mul_lo_u32 v12, s29, v6
	v_mul_lo_u32 v13, s28, v11
	v_mad_u64_u32 v[3:4], s[0:1], s28, v6, 0
	v_add3_u32 v4, v4, v13, v12
	v_sub_u32_e32 v12, v8, v4
	v_mov_b32_e32 v13, s29
	v_sub_co_u32_e32 v3, vcc, v7, v3
	v_subb_co_u32_e64 v12, s[0:1], v12, v13, vcc
	v_subrev_co_u32_e64 v13, s[0:1], s28, v3
	v_subbrev_co_u32_e64 v12, s[0:1], 0, v12, s[0:1]
	v_cmp_le_u32_e64 s[0:1], s29, v12
	v_cndmask_b32_e64 v14, 0, -1, s[0:1]
	v_cmp_le_u32_e64 s[0:1], s28, v13
	v_cndmask_b32_e64 v13, 0, -1, s[0:1]
	v_cmp_eq_u32_e64 s[0:1], s29, v12
	v_cndmask_b32_e64 v12, v14, v13, s[0:1]
	v_add_co_u32_e64 v13, s[0:1], 2, v6
	v_addc_co_u32_e64 v14, s[0:1], 0, v11, s[0:1]
	v_add_co_u32_e64 v15, s[0:1], 1, v6
	v_addc_co_u32_e64 v16, s[0:1], 0, v11, s[0:1]
	v_subb_co_u32_e32 v4, vcc, v8, v4, vcc
	v_cmp_ne_u32_e64 s[0:1], 0, v12
	v_cmp_le_u32_e32 vcc, s29, v4
	v_cndmask_b32_e64 v12, v16, v14, s[0:1]
	v_cndmask_b32_e64 v14, 0, -1, vcc
	v_cmp_le_u32_e32 vcc, s28, v3
	v_cndmask_b32_e64 v3, 0, -1, vcc
	v_cmp_eq_u32_e32 vcc, s29, v4
	v_cndmask_b32_e32 v3, v14, v3, vcc
	v_cmp_ne_u32_e32 vcc, 0, v3
	v_cndmask_b32_e64 v3, v15, v13, s[0:1]
	v_cndmask_b32_e32 v4, v11, v12, vcc
	v_cndmask_b32_e32 v3, v6, v3, vcc
.LBB0_4:                                ;   in Loop: Header=BB0_2 Depth=1
	s_andn2_saveexec_b64 s[0:1], s[30:31]
	s_cbranch_execz .LBB0_6
; %bb.5:                                ;   in Loop: Header=BB0_2 Depth=1
	v_cvt_f32_u32_e32 v3, s28
	s_sub_i32 s30, 0, s28
	v_rcp_iflag_f32_e32 v3, v3
	v_mul_f32_e32 v3, 0x4f7ffffe, v3
	v_cvt_u32_f32_e32 v3, v3
	v_mul_lo_u32 v4, s30, v3
	v_mul_hi_u32 v4, v3, v4
	v_add_u32_e32 v3, v3, v4
	v_mul_hi_u32 v3, v7, v3
	v_mul_lo_u32 v4, v3, s28
	v_add_u32_e32 v6, 1, v3
	v_sub_u32_e32 v4, v7, v4
	v_subrev_u32_e32 v11, s28, v4
	v_cmp_le_u32_e32 vcc, s28, v4
	v_cndmask_b32_e32 v4, v4, v11, vcc
	v_cndmask_b32_e32 v3, v3, v6, vcc
	v_add_u32_e32 v6, 1, v3
	v_cmp_le_u32_e32 vcc, s28, v4
	v_cndmask_b32_e32 v3, v3, v6, vcc
	v_mov_b32_e32 v4, v5
.LBB0_6:                                ;   in Loop: Header=BB0_2 Depth=1
	s_or_b64 exec, exec, s[0:1]
	v_mul_lo_u32 v6, v4, s28
	v_mul_lo_u32 v13, v3, s29
	v_mad_u64_u32 v[11:12], s[0:1], v3, s28, 0
	s_load_dwordx2 s[0:1], s[22:23], 0x0
	s_load_dwordx2 s[28:29], s[6:7], 0x0
	v_add3_u32 v6, v12, v13, v6
	v_sub_co_u32_e32 v7, vcc, v7, v11
	v_subb_co_u32_e32 v6, vcc, v8, v6, vcc
	s_waitcnt lgkmcnt(0)
	v_mul_lo_u32 v8, s0, v6
	v_mul_lo_u32 v11, s1, v7
	v_mad_u64_u32 v[9:10], s[0:1], s0, v7, v[9:10]
	v_mul_lo_u32 v6, s28, v6
	v_mul_lo_u32 v12, s29, v7
	v_mad_u64_u32 v[1:2], s[0:1], s28, v7, v[1:2]
	s_add_u32 s26, s26, 1
	s_addc_u32 s27, s27, 0
	s_add_u32 s6, s6, 8
	v_add3_u32 v2, v12, v2, v6
	s_addc_u32 s7, s7, 0
	v_mov_b32_e32 v6, s14
	s_add_u32 s22, s22, 8
	v_mov_b32_e32 v7, s15
	s_addc_u32 s23, s23, 0
	v_cmp_ge_u64_e32 vcc, s[26:27], v[6:7]
	s_add_u32 s24, s24, 8
	v_add3_u32 v10, v11, v10, v8
	s_addc_u32 s25, s25, 0
	s_cbranch_vccnz .LBB0_9
; %bb.7:                                ;   in Loop: Header=BB0_2 Depth=1
	v_mov_b32_e32 v8, v4
	v_mov_b32_e32 v7, v3
	s_branch .LBB0_2
.LBB0_8:
	v_mov_b32_e32 v1, v9
	v_mov_b32_e32 v3, v7
	;; [unrolled: 1-line block ×4, first 2 shown]
.LBB0_9:
	s_load_dwordx2 s[0:1], s[4:5], 0x28
	s_lshl_b64 s[14:15], s[14:15], 3
	s_add_u32 s4, s18, s14
	s_addc_u32 s5, s19, s15
                                        ; implicit-def: $vgpr47
                                        ; implicit-def: $vgpr49
                                        ; implicit-def: $vgpr48
                                        ; implicit-def: $vgpr50
                                        ; implicit-def: $vgpr51
	s_waitcnt lgkmcnt(0)
	v_cmp_gt_u64_e32 vcc, s[0:1], v[3:4]
	v_cmp_le_u64_e64 s[0:1], s[0:1], v[3:4]
	s_and_saveexec_b64 s[6:7], s[0:1]
	s_xor_b64 s[0:1], exec, s[6:7]
; %bb.10:
	s_mov_b32 s6, 0x147ae15
	v_mul_hi_u32 v5, v0, s6
                                        ; implicit-def: $vgpr9_vgpr10
	v_mul_u32_u24_e32 v5, 0xc8, v5
	v_sub_u32_e32 v47, v0, v5
	v_add_u32_e32 v49, 0xc8, v47
	v_add_u32_e32 v48, 0x190, v47
	;; [unrolled: 1-line block ×4, first 2 shown]
                                        ; implicit-def: $vgpr0
; %bb.11:
	s_or_saveexec_b64 s[6:7], s[0:1]
                                        ; implicit-def: $vgpr6
                                        ; implicit-def: $vgpr8
                                        ; implicit-def: $vgpr40
                                        ; implicit-def: $vgpr42
                                        ; implicit-def: $vgpr11
                                        ; implicit-def: $vgpr44
                                        ; implicit-def: $vgpr46
                                        ; implicit-def: $vgpr13
                                        ; implicit-def: $vgpr16
                                        ; implicit-def: $vgpr28
                                        ; implicit-def: $vgpr20
                                        ; implicit-def: $vgpr30
                                        ; implicit-def: $vgpr32
                                        ; implicit-def: $vgpr22
                                        ; implicit-def: $vgpr34
                                        ; implicit-def: $vgpr26
                                        ; implicit-def: $vgpr24
                                        ; implicit-def: $vgpr18
                                        ; implicit-def: $vgpr38
                                        ; implicit-def: $vgpr36
	s_xor_b64 exec, exec, s[6:7]
	s_cbranch_execz .LBB0_13
; %bb.12:
	s_add_u32 s0, s16, s14
	s_mov_b32 s14, 0x147ae15
	v_mul_hi_u32 v5, v0, s14
	s_addc_u32 s1, s17, s15
	s_load_dwordx2 s[0:1], s[0:1], 0x0
	v_mul_u32_u24_e32 v5, 0xc8, v5
	v_sub_u32_e32 v47, v0, v5
	v_mad_u64_u32 v[5:6], s[14:15], s20, v47, 0
	s_waitcnt lgkmcnt(0)
	v_mul_lo_u32 v13, s1, v3
	v_mul_lo_u32 v14, s0, v4
	v_mad_u64_u32 v[7:8], s[0:1], s0, v3, 0
	v_mov_b32_e32 v0, v6
	v_mad_u64_u32 v[11:12], s[0:1], s21, v47, v[0:1]
	v_add3_u32 v8, v8, v14, v13
	v_lshlrev_b64 v[7:8], 3, v[7:8]
	v_mov_b32_e32 v6, v11
	v_mov_b32_e32 v0, s9
	v_add_co_u32_e64 v11, s[0:1], s8, v7
	v_add_u32_e32 v48, 0x190, v47
	v_addc_co_u32_e64 v0, s[0:1], v0, v8, s[0:1]
	v_lshlrev_b64 v[7:8], 3, v[9:10]
	v_mad_u64_u32 v[9:10], s[0:1], s20, v48, 0
	v_add_co_u32_e64 v13, s[0:1], v11, v7
	v_addc_co_u32_e64 v14, s[0:1], v0, v8, s[0:1]
	v_mov_b32_e32 v0, v10
	v_add_u32_e32 v50, 0x320, v47
	v_mad_u64_u32 v[7:8], s[0:1], s21, v48, v[0:1]
	v_mad_u64_u32 v[11:12], s[0:1], s20, v50, 0
	v_lshlrev_b64 v[5:6], 3, v[5:6]
	v_mov_b32_e32 v10, v7
	v_add_co_u32_e64 v21, s[0:1], v13, v5
	v_mov_b32_e32 v0, v12
	v_addc_co_u32_e64 v22, s[0:1], v14, v6, s[0:1]
	v_lshlrev_b64 v[5:6], 3, v[9:10]
	v_mad_u64_u32 v[7:8], s[0:1], s21, v50, v[0:1]
	v_add_u32_e32 v10, 0x4b0, v47
	v_mad_u64_u32 v[8:9], s[0:1], s20, v10, 0
	v_add_co_u32_e64 v23, s[0:1], v13, v5
	v_mov_b32_e32 v0, v9
	v_addc_co_u32_e64 v24, s[0:1], v14, v6, s[0:1]
	v_mov_b32_e32 v12, v7
	v_mad_u64_u32 v[9:10], s[0:1], s21, v10, v[0:1]
	v_add_u32_e32 v7, 0x640, v47
	v_lshlrev_b64 v[5:6], 3, v[11:12]
	v_mad_u64_u32 v[10:11], s[0:1], s20, v7, 0
	v_add_co_u32_e64 v25, s[0:1], v13, v5
	v_mov_b32_e32 v0, v11
	v_addc_co_u32_e64 v26, s[0:1], v14, v6, s[0:1]
	v_lshlrev_b64 v[5:6], 3, v[8:9]
	v_mad_u64_u32 v[7:8], s[0:1], s21, v7, v[0:1]
	v_add_u32_e32 v12, 0x7d0, v47
	v_mad_u64_u32 v[8:9], s[0:1], s20, v12, 0
	v_add_co_u32_e64 v31, s[0:1], v13, v5
	v_mov_b32_e32 v11, v7
	v_mov_b32_e32 v0, v9
	v_addc_co_u32_e64 v32, s[0:1], v14, v6, s[0:1]
	v_lshlrev_b64 v[5:6], 3, v[10:11]
	v_mad_u64_u32 v[9:10], s[0:1], s21, v12, v[0:1]
	v_add_u32_e32 v7, 0x960, v47
	v_mad_u64_u32 v[10:11], s[0:1], s20, v7, 0
	v_add_co_u32_e64 v33, s[0:1], v13, v5
	v_mov_b32_e32 v0, v11
	v_addc_co_u32_e64 v34, s[0:1], v14, v6, s[0:1]
	v_lshlrev_b64 v[5:6], 3, v[8:9]
	v_mad_u64_u32 v[7:8], s[0:1], s21, v7, v[0:1]
	v_add_u32_e32 v12, 0xaf0, v47
	v_mad_u64_u32 v[8:9], s[0:1], s20, v12, 0
	v_add_co_u32_e64 v52, s[0:1], v13, v5
	v_mov_b32_e32 v11, v7
	v_mov_b32_e32 v0, v9
	v_addc_co_u32_e64 v53, s[0:1], v14, v6, s[0:1]
	v_lshlrev_b64 v[5:6], 3, v[10:11]
	v_mad_u64_u32 v[9:10], s[0:1], s21, v12, v[0:1]
	v_add_u32_e32 v7, 0xc80, v47
	;; [unrolled: 15-line block ×7, first 2 shown]
	v_mad_u64_u32 v[10:11], s[0:1], s20, v7, 0
	v_add_co_u32_e64 v74, s[0:1], v13, v5
	v_mov_b32_e32 v0, v11
	v_addc_co_u32_e64 v75, s[0:1], v14, v6, s[0:1]
	v_lshlrev_b64 v[5:6], 3, v[8:9]
	v_mad_u64_u32 v[7:8], s[0:1], s21, v7, v[0:1]
	v_add_u32_e32 v12, 0xed8, v47
	v_mad_u64_u32 v[8:9], s[0:1], s20, v12, 0
	v_add_co_u32_e64 v76, s[0:1], v13, v5
	v_mov_b32_e32 v11, v7
	v_mov_b32_e32 v0, v9
	v_addc_co_u32_e64 v77, s[0:1], v14, v6, s[0:1]
	v_lshlrev_b64 v[5:6], 3, v[10:11]
	v_mad_u64_u32 v[9:10], s[0:1], s21, v12, v[0:1]
	v_add_co_u32_e64 v78, s[0:1], v13, v5
	v_addc_co_u32_e64 v79, s[0:1], v14, v6, s[0:1]
	v_lshlrev_b64 v[5:6], 3, v[8:9]
	v_add_co_u32_e64 v80, s[0:1], v13, v5
	v_addc_co_u32_e64 v81, s[0:1], v14, v6, s[0:1]
	global_load_dwordx2 v[5:6], v[21:22], off
	global_load_dwordx2 v[7:8], v[23:24], off
	;; [unrolled: 1-line block ×15, first 2 shown]
                                        ; kill: killed $vgpr62 killed $vgpr63
                                        ; kill: killed $vgpr56 killed $vgpr57
                                        ; kill: killed $vgpr25 killed $vgpr26
                                        ; kill: killed $vgpr64 killed $vgpr65
                                        ; kill: killed $vgpr60 killed $vgpr61
                                        ; kill: killed $vgpr33 killed $vgpr34
                                        ; kill: killed $vgpr68 killed $vgpr69
                                        ; kill: killed $vgpr54 killed $vgpr55
                                        ; kill: killed $vgpr58 killed $vgpr59
                                        ; kill: killed $vgpr31 killed $vgpr32
                                        ; kill: killed $vgpr21 killed $vgpr22
                                        ; kill: killed $vgpr66 killed $vgpr67
                                        ; kill: killed $vgpr52 killed $vgpr53
                                        ; kill: killed $vgpr23 killed $vgpr24
                                        ; kill: killed $vgpr70 killed $vgpr71
	global_load_dwordx2 v[23:24], v[72:73], off
	global_load_dwordx2 v[31:32], v[74:75], off
	;; [unrolled: 1-line block ×5, first 2 shown]
.LBB0_13:
	s_or_b64 exec, exec, s[6:7]
	s_waitcnt vmcnt(13)
	v_add_f32_e32 v9, v41, v43
	v_fma_f32 v52, -0.5, v9, v5
	s_waitcnt vmcnt(11)
	v_sub_f32_e32 v9, v40, v46
	v_mov_b32_e32 v53, v52
	v_fmac_f32_e32 v53, 0xbf737871, v9
	v_sub_f32_e32 v14, v42, v44
	v_sub_f32_e32 v54, v39, v41
	v_sub_f32_e32 v55, v45, v43
	v_fmac_f32_e32 v52, 0x3f737871, v9
	v_fmac_f32_e32 v53, 0xbf167918, v14
	v_add_f32_e32 v54, v54, v55
	v_fmac_f32_e32 v52, 0x3f167918, v14
	v_fmac_f32_e32 v53, 0x3e9e377a, v54
	;; [unrolled: 1-line block ×3, first 2 shown]
	v_add_f32_e32 v54, v39, v45
	v_add_f32_e32 v0, v5, v39
	v_fmac_f32_e32 v5, -0.5, v54
	v_mov_b32_e32 v54, v5
	v_fmac_f32_e32 v54, 0x3f737871, v14
	v_fmac_f32_e32 v5, 0xbf737871, v14
	v_fmac_f32_e32 v54, 0xbf167918, v9
	v_fmac_f32_e32 v5, 0x3f167918, v9
	v_add_f32_e32 v9, v6, v40
	v_sub_f32_e32 v55, v41, v39
	v_sub_f32_e32 v56, v43, v45
	v_add_f32_e32 v9, v9, v42
	v_add_f32_e32 v55, v55, v56
	;; [unrolled: 1-line block ×4, first 2 shown]
	v_fmac_f32_e32 v54, 0x3e9e377a, v55
	v_fmac_f32_e32 v5, 0x3e9e377a, v55
	v_add_f32_e32 v55, v9, v46
	v_add_f32_e32 v9, v42, v44
	v_add_f32_e32 v0, v0, v43
	v_fma_f32 v56, -0.5, v9, v6
	v_add_f32_e32 v0, v0, v45
	v_sub_f32_e32 v9, v39, v45
	v_mov_b32_e32 v45, v56
	v_fmac_f32_e32 v45, 0x3f737871, v9
	v_sub_f32_e32 v14, v41, v43
	v_sub_f32_e32 v39, v40, v42
	;; [unrolled: 1-line block ×3, first 2 shown]
	v_fmac_f32_e32 v56, 0xbf737871, v9
	v_fmac_f32_e32 v45, 0x3f167918, v14
	v_add_f32_e32 v39, v39, v41
	v_fmac_f32_e32 v56, 0xbf167918, v14
	v_fmac_f32_e32 v45, 0x3e9e377a, v39
	;; [unrolled: 1-line block ×3, first 2 shown]
	v_add_f32_e32 v39, v40, v46
	v_fmac_f32_e32 v6, -0.5, v39
	v_mov_b32_e32 v57, v6
	v_fmac_f32_e32 v57, 0xbf737871, v14
	v_fmac_f32_e32 v6, 0x3f737871, v14
	;; [unrolled: 1-line block ×4, first 2 shown]
	v_add_f32_e32 v9, v7, v35
	v_add_f32_e32 v9, v10, v9
	v_sub_f32_e32 v39, v42, v40
	v_sub_f32_e32 v40, v44, v46
	v_add_f32_e32 v9, v37, v9
	v_add_f32_e32 v39, v39, v40
	s_waitcnt vmcnt(10)
	v_add_f32_e32 v40, v12, v9
	v_add_f32_e32 v9, v10, v37
	v_fma_f32 v41, -0.5, v9, v7
	v_sub_f32_e32 v9, v36, v13
	v_mov_b32_e32 v14, v41
	v_fmac_f32_e32 v57, 0x3e9e377a, v39
	v_fmac_f32_e32 v6, 0x3e9e377a, v39
	;; [unrolled: 1-line block ×3, first 2 shown]
	v_sub_f32_e32 v39, v11, v38
	v_sub_f32_e32 v42, v35, v10
	;; [unrolled: 1-line block ×3, first 2 shown]
	v_fmac_f32_e32 v41, 0x3f737871, v9
	v_fmac_f32_e32 v14, 0xbf167918, v39
	v_add_f32_e32 v42, v43, v42
	v_fmac_f32_e32 v41, 0x3f167918, v39
	v_fmac_f32_e32 v14, 0x3e9e377a, v42
	;; [unrolled: 1-line block ×3, first 2 shown]
	v_add_f32_e32 v42, v12, v35
	v_fmac_f32_e32 v7, -0.5, v42
	v_mov_b32_e32 v42, v7
	v_fmac_f32_e32 v42, 0x3f737871, v39
	v_fmac_f32_e32 v7, 0xbf737871, v39
	;; [unrolled: 1-line block ×4, first 2 shown]
	v_add_f32_e32 v9, v8, v36
	v_add_f32_e32 v9, v11, v9
	v_sub_f32_e32 v43, v10, v35
	v_sub_f32_e32 v44, v37, v12
	v_add_f32_e32 v9, v38, v9
	v_add_f32_e32 v43, v44, v43
	;; [unrolled: 1-line block ×4, first 2 shown]
	v_fmac_f32_e32 v42, 0x3e9e377a, v43
	v_fmac_f32_e32 v7, 0x3e9e377a, v43
	v_fma_f32 v43, -0.5, v9, v8
	v_sub_f32_e32 v9, v35, v12
	v_mov_b32_e32 v12, v43
	v_fmac_f32_e32 v12, 0x3f737871, v9
	v_sub_f32_e32 v10, v10, v37
	v_sub_f32_e32 v35, v36, v11
	;; [unrolled: 1-line block ×3, first 2 shown]
	v_fmac_f32_e32 v43, 0xbf737871, v9
	v_fmac_f32_e32 v12, 0x3f167918, v10
	v_add_f32_e32 v35, v37, v35
	v_fmac_f32_e32 v43, 0xbf167918, v10
	v_fmac_f32_e32 v12, 0x3e9e377a, v35
	;; [unrolled: 1-line block ×3, first 2 shown]
	v_add_f32_e32 v35, v13, v36
	v_fmac_f32_e32 v8, -0.5, v35
	v_mov_b32_e32 v44, v8
	v_fmac_f32_e32 v44, 0xbf737871, v10
	v_sub_f32_e32 v11, v11, v36
	v_sub_f32_e32 v13, v38, v13
	v_fmac_f32_e32 v8, 0x3f737871, v10
	v_fmac_f32_e32 v44, 0x3f167918, v9
	v_add_f32_e32 v11, v13, v11
	v_fmac_f32_e32 v8, 0xbf167918, v9
	v_fmac_f32_e32 v44, 0x3e9e377a, v11
	;; [unrolled: 1-line block ×3, first 2 shown]
	v_mul_f32_e32 v11, 0xbf167918, v12
	v_mul_f32_e32 v12, 0x3f4f1bbd, v12
	v_fmac_f32_e32 v11, 0x3f4f1bbd, v14
	v_mul_f32_e32 v60, 0xbf167918, v43
	v_fmac_f32_e32 v12, 0x3f167918, v14
	v_mul_f32_e32 v63, 0xbf4f1bbd, v43
	v_add_f32_e32 v36, v53, v11
	v_fmac_f32_e32 v60, 0xbf4f1bbd, v41
	v_add_f32_e32 v10, v45, v12
	v_fmac_f32_e32 v63, 0x3f167918, v41
	v_sub_f32_e32 v41, v53, v11
	v_sub_f32_e32 v11, v45, v12
	s_waitcnt vmcnt(3)
	v_add_f32_e32 v45, v29, v31
	v_mul_f32_e32 v58, 0xbf737871, v44
	v_mul_f32_e32 v61, 0x3f737871, v42
	v_fma_f32 v45, -0.5, v45, v15
	v_fmac_f32_e32 v58, 0x3e9e377a, v42
	v_mul_f32_e32 v59, 0xbf737871, v8
	v_add_f32_e32 v39, v52, v60
	v_add_f32_e32 v9, v55, v46
	v_fmac_f32_e32 v61, 0x3e9e377a, v44
	v_mul_f32_e32 v62, 0xbe9e377a, v8
	v_sub_f32_e32 v44, v52, v60
	v_sub_f32_e32 v8, v55, v46
	s_waitcnt vmcnt(1)
	v_sub_f32_e32 v46, v28, v34
	v_mov_b32_e32 v52, v45
	v_add_f32_e32 v37, v54, v58
	v_sub_f32_e32 v42, v54, v58
	v_fmac_f32_e32 v52, 0xbf737871, v46
	v_sub_f32_e32 v53, v30, v32
	v_sub_f32_e32 v54, v27, v29
	;; [unrolled: 1-line block ×3, first 2 shown]
	v_fmac_f32_e32 v45, 0x3f737871, v46
	v_fmac_f32_e32 v52, 0xbf167918, v53
	v_add_f32_e32 v54, v54, v55
	v_fmac_f32_e32 v45, 0x3f167918, v53
	v_fmac_f32_e32 v52, 0x3e9e377a, v54
	;; [unrolled: 1-line block ×3, first 2 shown]
	v_add_f32_e32 v54, v27, v33
	v_add_f32_e32 v35, v0, v40
	v_sub_f32_e32 v40, v0, v40
	v_add_f32_e32 v0, v15, v27
	v_fmac_f32_e32 v15, -0.5, v54
	v_fmac_f32_e32 v59, 0xbe9e377a, v7
	v_fmac_f32_e32 v62, 0x3f737871, v7
	v_mov_b32_e32 v54, v15
	v_add_f32_e32 v38, v5, v59
	v_add_f32_e32 v14, v6, v62
	v_add_f32_e32 v7, v56, v63
	v_sub_f32_e32 v43, v5, v59
	v_sub_f32_e32 v5, v6, v62
	;; [unrolled: 1-line block ×3, first 2 shown]
	v_fmac_f32_e32 v54, 0x3f737871, v53
	v_sub_f32_e32 v55, v29, v27
	v_sub_f32_e32 v56, v31, v33
	v_fmac_f32_e32 v15, 0xbf737871, v53
	v_add_f32_e32 v53, v30, v32
	v_add_f32_e32 v0, v0, v29
	v_fmac_f32_e32 v54, 0xbf167918, v46
	v_add_f32_e32 v55, v55, v56
	v_fmac_f32_e32 v15, 0x3f167918, v46
	v_fma_f32 v53, -0.5, v53, v16
	v_add_f32_e32 v0, v0, v31
	v_fmac_f32_e32 v54, 0x3e9e377a, v55
	v_fmac_f32_e32 v15, 0x3e9e377a, v55
	v_sub_f32_e32 v27, v27, v33
	v_mov_b32_e32 v55, v53
	v_add_f32_e32 v0, v0, v33
	v_fmac_f32_e32 v55, 0x3f737871, v27
	v_sub_f32_e32 v29, v29, v31
	v_sub_f32_e32 v31, v28, v30
	v_sub_f32_e32 v33, v34, v32
	v_fmac_f32_e32 v53, 0xbf737871, v27
	v_fmac_f32_e32 v55, 0x3f167918, v29
	v_add_f32_e32 v31, v31, v33
	v_fmac_f32_e32 v53, 0xbf167918, v29
	v_fmac_f32_e32 v55, 0x3e9e377a, v31
	;; [unrolled: 1-line block ×3, first 2 shown]
	v_add_f32_e32 v31, v28, v34
	v_add_f32_e32 v46, v16, v28
	v_fmac_f32_e32 v16, -0.5, v31
	v_mov_b32_e32 v56, v16
	v_fmac_f32_e32 v56, 0xbf737871, v29
	v_fmac_f32_e32 v16, 0x3f737871, v29
	;; [unrolled: 1-line block ×4, first 2 shown]
	v_add_f32_e32 v27, v19, v17
	v_add_f32_e32 v27, v23, v27
	;; [unrolled: 1-line block ×3, first 2 shown]
	v_sub_f32_e32 v28, v30, v28
	v_sub_f32_e32 v30, v32, v34
	v_add_f32_e32 v27, v21, v27
	v_add_f32_e32 v28, v28, v30
	s_waitcnt vmcnt(0)
	v_add_f32_e32 v30, v25, v27
	v_add_f32_e32 v27, v21, v23
	v_fma_f32 v31, -0.5, v27, v17
	v_add_f32_e32 v46, v46, v32
	v_sub_f32_e32 v27, v20, v26
	v_mov_b32_e32 v32, v31
	v_fmac_f32_e32 v56, 0x3e9e377a, v28
	v_fmac_f32_e32 v16, 0x3e9e377a, v28
	;; [unrolled: 1-line block ×3, first 2 shown]
	v_sub_f32_e32 v28, v24, v22
	v_sub_f32_e32 v29, v19, v23
	v_sub_f32_e32 v33, v25, v21
	v_fmac_f32_e32 v31, 0x3f737871, v27
	v_fmac_f32_e32 v32, 0xbf167918, v28
	v_add_f32_e32 v29, v33, v29
	v_fmac_f32_e32 v31, 0x3f167918, v28
	v_fmac_f32_e32 v32, 0x3e9e377a, v29
	;; [unrolled: 1-line block ×3, first 2 shown]
	v_add_f32_e32 v29, v19, v25
	v_fmac_f32_e32 v17, -0.5, v29
	v_mov_b32_e32 v33, v17
	v_fmac_f32_e32 v33, 0x3f737871, v28
	v_fmac_f32_e32 v17, 0xbf737871, v28
	;; [unrolled: 1-line block ×4, first 2 shown]
	v_add_f32_e32 v27, v20, v18
	v_add_f32_e32 v27, v24, v27
	v_add_f32_e32 v27, v22, v27
	v_add_f32_e32 v13, v57, v61
	v_sub_f32_e32 v12, v57, v61
	v_add_f32_e32 v46, v46, v34
	v_sub_f32_e32 v29, v23, v19
	v_sub_f32_e32 v34, v21, v25
	v_add_f32_e32 v57, v26, v27
	v_add_f32_e32 v27, v22, v24
	;; [unrolled: 1-line block ×3, first 2 shown]
	v_fma_f32 v34, -0.5, v27, v18
	v_sub_f32_e32 v19, v19, v25
	v_mov_b32_e32 v58, v34
	v_fmac_f32_e32 v58, 0x3f737871, v19
	v_sub_f32_e32 v21, v23, v21
	v_sub_f32_e32 v23, v20, v24
	;; [unrolled: 1-line block ×3, first 2 shown]
	v_fmac_f32_e32 v34, 0xbf737871, v19
	v_fmac_f32_e32 v58, 0x3f167918, v21
	v_add_f32_e32 v23, v25, v23
	v_fmac_f32_e32 v34, 0xbf167918, v21
	v_fmac_f32_e32 v58, 0x3e9e377a, v23
	;; [unrolled: 1-line block ×3, first 2 shown]
	v_add_f32_e32 v23, v20, v26
	v_fmac_f32_e32 v18, -0.5, v23
	v_mov_b32_e32 v23, v18
	v_fmac_f32_e32 v23, 0xbf737871, v21
	v_sub_f32_e32 v20, v24, v20
	v_sub_f32_e32 v22, v22, v26
	v_fmac_f32_e32 v18, 0x3f737871, v21
	v_fmac_f32_e32 v23, 0x3f167918, v19
	v_add_f32_e32 v20, v22, v20
	v_fmac_f32_e32 v18, 0xbf167918, v19
	v_fmac_f32_e32 v23, 0x3e9e377a, v20
	;; [unrolled: 1-line block ×3, first 2 shown]
	v_mul_f32_e32 v61, 0xbf167918, v34
	v_fmac_f32_e32 v33, 0x3e9e377a, v29
	v_fmac_f32_e32 v17, 0x3e9e377a, v29
	v_add_f32_e32 v25, v0, v30
	v_mul_f32_e32 v24, 0xbf167918, v58
	v_mul_f32_e32 v59, 0xbf737871, v23
	;; [unrolled: 1-line block ×3, first 2 shown]
	v_fmac_f32_e32 v61, 0xbf4f1bbd, v31
	v_sub_f32_e32 v30, v0, v30
	v_mul_u32_u24_e32 v0, 10, v47
	v_fmac_f32_e32 v24, 0x3f4f1bbd, v32
	v_fmac_f32_e32 v59, 0x3e9e377a, v33
	;; [unrolled: 1-line block ×3, first 2 shown]
	v_add_f32_e32 v29, v45, v61
	v_mul_f32_e32 v64, 0xbf4f1bbd, v34
	v_sub_f32_e32 v34, v45, v61
	v_lshl_add_u32 v45, v0, 2, 0
	v_mul_i32_i24_e32 v0, 10, v49
	v_add_f32_e32 v26, v52, v24
	v_add_f32_e32 v27, v54, v59
	;; [unrolled: 1-line block ×3, first 2 shown]
	v_mul_f32_e32 v62, 0x3f167918, v32
	v_lshl_add_u32 v0, v0, 2, 0
	s_movk_i32 s0, 0xffdc
	s_load_dwordx2 s[4:5], s[4:5], 0x0
	v_fmac_f32_e32 v62, 0x3f4f1bbd, v58
	v_mul_f32_e32 v58, 0x3f737871, v33
	v_mul_f32_e32 v63, 0xbe9e377a, v18
	v_fmac_f32_e32 v64, 0x3f167918, v31
	v_sub_f32_e32 v31, v52, v24
	v_sub_f32_e32 v32, v54, v59
	;; [unrolled: 1-line block ×3, first 2 shown]
	ds_write2_b64 v45, v[35:36], v[37:38] offset1:1
	ds_write2_b64 v45, v[39:40], v[41:42] offset0:2 offset1:3
	ds_write_b64 v45, v[43:44] offset:32
	ds_write2_b64 v0, v[25:26], v[27:28] offset1:1
	ds_write2_b64 v0, v[29:30], v[31:32] offset0:2 offset1:3
	ds_write_b64 v0, v[33:34] offset:32
	v_mad_i32_i24 v30, v47, s0, v45
	v_fmac_f32_e32 v58, 0x3e9e377a, v23
	v_fmac_f32_e32 v63, 0x3f737871, v17
	v_lshl_add_u32 v31, v48, 2, 0
	v_lshl_add_u32 v32, v50, 2, 0
	v_add_u32_e32 v25, 0xf00, v30
	v_add_u32_e32 v28, 0x1580, v30
	;; [unrolled: 1-line block ×7, first 2 shown]
	v_mad_i32_i24 v35, v49, s0, v0
	s_movk_i32 s0, 0xcd
	v_add_f32_e32 v19, v46, v57
	v_add_f32_e32 v20, v55, v62
	;; [unrolled: 1-line block ×5, first 2 shown]
	v_sub_f32_e32 v18, v46, v57
	v_sub_f32_e32 v23, v55, v62
	;; [unrolled: 1-line block ×5, first 2 shown]
	s_waitcnt lgkmcnt(0)
	s_barrier
	ds_read_b32 v37, v30
	ds_read_b32 v52, v31
	;; [unrolled: 1-line block ×3, first 2 shown]
	ds_read2_b32 v[56:57], v25 offset0:40 offset1:240
	ds_read2_b32 v[59:60], v28 offset0:24 offset1:224
	;; [unrolled: 1-line block ×7, first 2 shown]
	ds_read_b32 v36, v35
	ds_read_b32 v58, v30 offset:2400
	ds_read_b32 v42, v30 offset:15200
	s_waitcnt lgkmcnt(0)
	s_barrier
	ds_write2_b64 v45, v[9:10], v[13:14] offset1:1
	ds_write2_b64 v45, v[7:8], v[11:12] offset0:2 offset1:3
	ds_write_b64 v45, v[5:6] offset:32
	ds_write2_b64 v0, v[19:20], v[21:22] offset1:1
	ds_write2_b64 v0, v[17:18], v[23:24] offset0:2 offset1:3
	ds_write_b64 v0, v[15:16] offset:32
	v_mul_lo_u16_sdwa v5, v47, s0 dst_sel:DWORD dst_unused:UNUSED_PAD src0_sel:BYTE_0 src1_sel:DWORD
	v_lshrrev_b16_e32 v13, 11, v5
	v_mul_lo_u16_e32 v5, 10, v13
	v_sub_u16_e32 v5, v47, v5
	v_mov_b32_e32 v8, 9
	v_mul_u32_u24_sdwa v8, v5, v8 dst_sel:DWORD dst_unused:UNUSED_PAD src0_sel:BYTE_0 src1_sel:DWORD
	v_lshlrev_b32_e32 v54, 3, v8
	s_waitcnt lgkmcnt(0)
	s_barrier
	ds_read_b32 v11, v30
	ds_read_b32 v6, v31
	;; [unrolled: 1-line block ×3, first 2 shown]
	ds_read2_b32 v[79:80], v25 offset0:40 offset1:240
	ds_read2_b32 v[81:82], v28 offset0:24 offset1:224
	;; [unrolled: 1-line block ×7, first 2 shown]
	ds_read_b32 v9, v35
	ds_read_b32 v24, v30 offset:2400
	ds_read_b32 v93, v30 offset:15200
	global_load_dwordx4 v[20:23], v54, s[12:13] offset:48
	global_load_dwordx4 v[38:41], v54, s[12:13] offset:32
	;; [unrolled: 1-line block ×3, first 2 shown]
	global_load_dwordx4 v[14:17], v54, s[12:13]
	s_mov_b32 s0, 0xcccd
	s_movk_i32 s6, 0xfa0
	s_waitcnt vmcnt(3) lgkmcnt(5)
	v_mul_f32_e32 v19, v88, v21
	s_waitcnt vmcnt(2)
	v_mul_f32_e32 v18, v84, v39
	v_fmac_f32_e32 v18, v70, v38
	s_waitcnt vmcnt(0)
	v_mul_f32_e32 v10, v52, v15
	v_mul_f32_e32 v8, v6, v15
	v_fma_f32 v10, v6, v14, -v10
	v_mul_f32_e32 v6, v53, v17
	v_fma_f32 v95, v7, v16, -v6
	;; [unrolled: 2-line block ×3, first 2 shown]
	v_mul_f32_e32 v6, v60, v46
	v_mul_f32_e32 v94, v7, v17
	;; [unrolled: 1-line block ×4, first 2 shown]
	v_fma_f32 v82, v82, v45, -v6
	v_mul_f32_e32 v6, v70, v39
	v_fmac_f32_e32 v8, v52, v14
	v_fma_f32 v14, v84, v38, -v6
	v_mul_f32_e32 v70, v86, v41
	v_mul_f32_e32 v6, v72, v41
	v_fmac_f32_e32 v70, v72, v40
	v_fma_f32 v72, v86, v40, -v6
	v_mul_f32_e32 v6, v74, v21
	v_fmac_f32_e32 v19, v74, v20
	v_fma_f32 v15, v88, v20, -v6
	s_waitcnt lgkmcnt(4)
	v_mul_f32_e32 v74, v90, v23
	v_mul_f32_e32 v6, v76, v23
	v_fmac_f32_e32 v74, v76, v22
	v_fma_f32 v76, v90, v22, -v6
	global_load_dwordx2 v[6:7], v54, s[12:13] offset:64
	v_fmac_f32_e32 v94, v53, v16
	v_fmac_f32_e32 v17, v57, v43
	;; [unrolled: 1-line block ×3, first 2 shown]
	s_waitcnt vmcnt(0) lgkmcnt(3)
	v_mul_f32_e32 v41, v92, v7
	v_mul_f32_e32 v7, v78, v7
	v_fmac_f32_e32 v41, v78, v6
	v_fma_f32 v16, v92, v6, -v7
	v_mul_u32_u24_sdwa v6, v49, s0 dst_sel:DWORD dst_unused:UNUSED_PAD src0_sel:WORD_0 src1_sel:DWORD
	v_lshrrev_b32_e32 v6, 19, v6
	v_mul_lo_u16_e32 v7, 10, v6
	v_sub_u16_e32 v7, v49, v7
	v_mul_u32_u24_e32 v20, 9, v7
	v_lshlrev_b32_e32 v78, 3, v20
	global_load_dwordx4 v[43:46], v78, s[12:13] offset:48
	global_load_dwordx4 v[61:64], v78, s[12:13] offset:32
	;; [unrolled: 1-line block ×3, first 2 shown]
	global_load_dwordx4 v[52:55], v78, s[12:13]
	v_mul_u32_u24_e32 v6, 0x190, v6
	v_lshlrev_b32_e32 v7, 2, v7
	v_add3_u32 v6, 0, v6, v7
	s_movk_i32 s0, 0x64
	v_cmp_gt_u32_e64 s[0:1], s0, v47
	s_waitcnt vmcnt(3)
	v_mul_f32_e32 v40, v89, v44
	s_waitcnt vmcnt(2)
	v_mul_f32_e32 v38, v73, v64
	;; [unrolled: 2-line block ×3, first 2 shown]
	s_waitcnt vmcnt(0) lgkmcnt(1)
	v_mul_f32_e32 v23, v24, v53
	v_mul_f32_e32 v20, v58, v53
	v_fmac_f32_e32 v23, v58, v52
	v_fma_f32 v24, v24, v52, -v20
	v_mul_f32_e32 v58, v79, v55
	v_mul_f32_e32 v20, v56, v55
	v_fmac_f32_e32 v58, v56, v54
	v_fma_f32 v54, v79, v54, -v20
	v_fmac_f32_e32 v22, v59, v65
	v_mul_f32_e32 v20, v59, v66
	v_mul_f32_e32 v21, v69, v68
	v_fma_f32 v59, v87, v63, -v38
	v_mul_f32_e32 v38, v75, v44
	v_fma_f32 v57, v83, v67, -v21
	v_mul_f32_e32 v39, v85, v62
	v_mul_f32_e32 v21, v71, v62
	v_fmac_f32_e32 v40, v75, v43
	v_fma_f32 v38, v89, v43, -v38
	v_mul_f32_e32 v43, v77, v46
	v_fmac_f32_e32 v39, v71, v61
	v_fma_f32 v21, v85, v61, -v21
	v_fma_f32 v61, v91, v45, -v43
	global_load_dwordx2 v[43:44], v78, s[12:13] offset:64
	v_mul_f32_e32 v62, v87, v64
	v_fma_f32 v20, v81, v65, -v20
	v_fmac_f32_e32 v62, v73, v63
	v_mul_f32_e32 v63, v91, v46
	v_fmac_f32_e32 v63, v77, v45
	v_sub_f32_e32 v52, v94, v80
	v_sub_f32_e32 v53, v74, v70
	v_add_f32_e32 v52, v52, v53
	v_mul_f32_e32 v60, v83, v68
	v_fmac_f32_e32 v60, v69, v67
	v_sub_f32_e32 v53, v80, v94
	v_sub_f32_e32 v55, v70, v74
	v_add_f32_e32 v53, v53, v55
	v_sub_f32_e32 v55, v76, v72
	v_sub_f32_e32 v56, v41, v19
	s_waitcnt vmcnt(0) lgkmcnt(0)
	s_barrier
	v_mul_f32_e32 v64, v93, v44
	v_fmac_f32_e32 v64, v42, v43
	v_mul_f32_e32 v42, v42, v44
	v_fma_f32 v65, v93, v43, -v42
	v_add_f32_e32 v42, v37, v94
	v_add_f32_e32 v42, v42, v80
	;; [unrolled: 1-line block ×5, first 2 shown]
	v_fma_f32 v46, -0.5, v42, v37
	v_sub_f32_e32 v42, v95, v76
	v_mov_b32_e32 v45, v46
	v_fmac_f32_e32 v45, 0xbf737871, v42
	v_sub_f32_e32 v43, v82, v72
	v_fmac_f32_e32 v46, 0x3f737871, v42
	v_fmac_f32_e32 v45, 0xbf167918, v43
	;; [unrolled: 1-line block ×5, first 2 shown]
	v_add_f32_e32 v52, v94, v74
	v_fmac_f32_e32 v37, -0.5, v52
	v_mov_b32_e32 v52, v37
	v_fmac_f32_e32 v52, 0x3f737871, v43
	v_fmac_f32_e32 v37, 0xbf737871, v43
	;; [unrolled: 1-line block ×4, first 2 shown]
	v_add_f32_e32 v42, v11, v95
	v_add_f32_e32 v42, v42, v82
	;; [unrolled: 1-line block ×5, first 2 shown]
	v_fma_f32 v67, -0.5, v42, v11
	v_sub_f32_e32 v42, v94, v74
	v_mov_b32_e32 v68, v67
	v_fmac_f32_e32 v52, 0x3e9e377a, v53
	v_fmac_f32_e32 v37, 0x3e9e377a, v53
	;; [unrolled: 1-line block ×3, first 2 shown]
	v_sub_f32_e32 v43, v80, v70
	v_sub_f32_e32 v53, v95, v82
	v_fmac_f32_e32 v67, 0xbf737871, v42
	v_fmac_f32_e32 v68, 0x3f167918, v43
	v_add_f32_e32 v53, v53, v55
	v_fmac_f32_e32 v67, 0xbf167918, v43
	v_fmac_f32_e32 v68, 0x3e9e377a, v53
	;; [unrolled: 1-line block ×3, first 2 shown]
	v_add_f32_e32 v53, v95, v76
	v_fmac_f32_e32 v11, -0.5, v53
	v_mov_b32_e32 v69, v11
	v_fmac_f32_e32 v69, 0xbf737871, v43
	v_fmac_f32_e32 v11, 0x3f737871, v43
	;; [unrolled: 1-line block ×4, first 2 shown]
	v_add_f32_e32 v42, v8, v17
	v_sub_f32_e32 v53, v82, v95
	v_sub_f32_e32 v55, v72, v76
	v_add_f32_e32 v42, v42, v18
	v_add_f32_e32 v53, v53, v55
	;; [unrolled: 1-line block ×3, first 2 shown]
	v_fmac_f32_e32 v69, 0x3e9e377a, v53
	v_fmac_f32_e32 v11, 0x3e9e377a, v53
	v_add_f32_e32 v53, v42, v41
	v_add_f32_e32 v42, v18, v19
	v_fma_f32 v70, -0.5, v42, v8
	v_sub_f32_e32 v42, v12, v16
	v_mov_b32_e32 v71, v70
	v_fmac_f32_e32 v71, 0xbf737871, v42
	v_sub_f32_e32 v43, v14, v15
	v_sub_f32_e32 v55, v17, v18
	v_fmac_f32_e32 v70, 0x3f737871, v42
	v_fmac_f32_e32 v71, 0xbf167918, v43
	v_add_f32_e32 v55, v55, v56
	v_fmac_f32_e32 v70, 0x3f167918, v43
	v_fmac_f32_e32 v71, 0x3e9e377a, v55
	;; [unrolled: 1-line block ×3, first 2 shown]
	v_add_f32_e32 v55, v17, v41
	v_fmac_f32_e32 v8, -0.5, v55
	v_mov_b32_e32 v72, v8
	v_fmac_f32_e32 v72, 0x3f737871, v43
	v_fmac_f32_e32 v8, 0xbf737871, v43
	;; [unrolled: 1-line block ×4, first 2 shown]
	v_add_f32_e32 v42, v10, v12
	v_add_f32_e32 v42, v42, v14
	v_add_f32_e32 v42, v42, v15
	v_add_f32_e32 v73, v42, v16
	v_add_f32_e32 v42, v14, v15
	v_fma_f32 v74, -0.5, v42, v10
	v_sub_f32_e32 v55, v18, v17
	v_sub_f32_e32 v17, v17, v41
	v_mov_b32_e32 v75, v74
	v_sub_f32_e32 v56, v19, v41
	v_fmac_f32_e32 v75, 0x3f737871, v17
	v_sub_f32_e32 v18, v18, v19
	v_sub_f32_e32 v19, v12, v14
	;; [unrolled: 1-line block ×3, first 2 shown]
	v_fmac_f32_e32 v74, 0xbf737871, v17
	v_fmac_f32_e32 v75, 0x3f167918, v18
	v_add_f32_e32 v19, v19, v41
	v_fmac_f32_e32 v74, 0xbf167918, v18
	v_fmac_f32_e32 v75, 0x3e9e377a, v19
	;; [unrolled: 1-line block ×3, first 2 shown]
	v_add_f32_e32 v19, v12, v16
	v_fmac_f32_e32 v10, -0.5, v19
	v_mov_b32_e32 v76, v10
	v_fmac_f32_e32 v76, 0xbf737871, v18
	v_sub_f32_e32 v12, v14, v12
	v_sub_f32_e32 v14, v15, v16
	v_fmac_f32_e32 v76, 0x3f167918, v17
	v_add_f32_e32 v12, v12, v14
	v_add_f32_e32 v55, v55, v56
	v_fmac_f32_e32 v76, 0x3e9e377a, v12
	v_fmac_f32_e32 v10, 0x3f737871, v18
	;; [unrolled: 1-line block ×4, first 2 shown]
	v_mul_f32_e32 v17, 0xbf737871, v76
	v_fmac_f32_e32 v10, 0x3e9e377a, v12
	v_mul_f32_e32 v12, 0xbf167918, v75
	v_fmac_f32_e32 v17, 0x3e9e377a, v72
	;; [unrolled: 2-line block ×3, first 2 shown]
	v_add_f32_e32 v42, v52, v17
	v_mul_f32_e32 v78, 0xbf167918, v74
	v_add_f32_e32 v18, v66, v73
	v_fmac_f32_e32 v75, 0x3f167918, v71
	v_mul_f32_e32 v71, 0x3e9e377a, v76
	v_mul_f32_e32 v74, 0xbf4f1bbd, v74
	v_sub_f32_e32 v52, v52, v17
	v_sub_f32_e32 v17, v66, v73
	v_add_f32_e32 v66, v60, v62
	v_fmac_f32_e32 v8, 0x3e9e377a, v55
	v_mul_f32_e32 v77, 0xbf737871, v10
	v_fmac_f32_e32 v71, 0x3f737871, v72
	v_mul_f32_e32 v72, 0xbe9e377a, v10
	v_fmac_f32_e32 v74, 0x3f167918, v70
	v_fma_f32 v66, -0.5, v66, v36
	v_add_f32_e32 v56, v45, v12
	v_fmac_f32_e32 v77, 0xbe9e377a, v8
	v_add_f32_e32 v19, v68, v75
	v_fmac_f32_e32 v72, 0x3f737871, v8
	v_add_f32_e32 v14, v67, v74
	v_sub_f32_e32 v45, v45, v12
	v_sub_f32_e32 v8, v68, v75
	;; [unrolled: 1-line block ×4, first 2 shown]
	v_mov_b32_e32 v68, v66
	v_fmac_f32_e32 v78, 0xbf4f1bbd, v70
	v_add_f32_e32 v15, v69, v71
	v_sub_f32_e32 v10, v69, v71
	v_fmac_f32_e32 v68, 0xbf737871, v67
	v_sub_f32_e32 v69, v57, v59
	v_sub_f32_e32 v70, v58, v60
	;; [unrolled: 1-line block ×3, first 2 shown]
	v_fmac_f32_e32 v66, 0x3f737871, v67
	v_fmac_f32_e32 v68, 0xbf167918, v69
	v_add_f32_e32 v70, v70, v71
	v_fmac_f32_e32 v66, 0x3f167918, v69
	v_fmac_f32_e32 v68, 0x3e9e377a, v70
	;; [unrolled: 1-line block ×3, first 2 shown]
	v_add_f32_e32 v70, v58, v63
	v_add_f32_e32 v55, v44, v53
	;; [unrolled: 1-line block ×3, first 2 shown]
	v_sub_f32_e32 v53, v44, v53
	v_sub_f32_e32 v44, v37, v77
	v_add_f32_e32 v37, v36, v58
	v_fmac_f32_e32 v36, -0.5, v70
	v_mov_b32_e32 v70, v36
	v_add_f32_e32 v16, v11, v72
	v_sub_f32_e32 v11, v11, v72
	v_fmac_f32_e32 v70, 0x3f737871, v69
	v_sub_f32_e32 v71, v60, v58
	v_sub_f32_e32 v72, v62, v63
	v_fmac_f32_e32 v36, 0xbf737871, v69
	v_add_f32_e32 v69, v57, v59
	v_add_f32_e32 v37, v37, v60
	v_fmac_f32_e32 v70, 0xbf167918, v67
	v_add_f32_e32 v71, v71, v72
	v_fmac_f32_e32 v36, 0x3f167918, v67
	v_fma_f32 v69, -0.5, v69, v9
	v_add_f32_e32 v37, v37, v62
	v_fmac_f32_e32 v70, 0x3e9e377a, v71
	v_fmac_f32_e32 v36, 0x3e9e377a, v71
	v_sub_f32_e32 v58, v58, v63
	v_mov_b32_e32 v71, v69
	v_add_f32_e32 v37, v37, v63
	v_fmac_f32_e32 v71, 0x3f737871, v58
	v_sub_f32_e32 v60, v60, v62
	v_sub_f32_e32 v62, v54, v57
	;; [unrolled: 1-line block ×3, first 2 shown]
	v_fmac_f32_e32 v69, 0xbf737871, v58
	v_fmac_f32_e32 v71, 0x3f167918, v60
	v_add_f32_e32 v62, v62, v63
	v_fmac_f32_e32 v69, 0xbf167918, v60
	v_fmac_f32_e32 v71, 0x3e9e377a, v62
	;; [unrolled: 1-line block ×3, first 2 shown]
	v_add_f32_e32 v62, v54, v61
	v_add_f32_e32 v67, v9, v54
	v_fmac_f32_e32 v9, -0.5, v62
	v_mov_b32_e32 v72, v9
	v_add_f32_e32 v67, v67, v57
	v_fmac_f32_e32 v72, 0xbf737871, v60
	v_sub_f32_e32 v54, v57, v54
	v_sub_f32_e32 v57, v59, v61
	v_fmac_f32_e32 v9, 0x3f737871, v60
	v_fmac_f32_e32 v72, 0x3f167918, v58
	v_add_f32_e32 v54, v54, v57
	v_fmac_f32_e32 v9, 0xbf167918, v58
	v_fmac_f32_e32 v72, 0x3e9e377a, v54
	;; [unrolled: 1-line block ×3, first 2 shown]
	v_add_f32_e32 v54, v23, v22
	v_add_f32_e32 v54, v54, v39
	;; [unrolled: 1-line block ×6, first 2 shown]
	v_fma_f32 v60, -0.5, v54, v23
	v_add_f32_e32 v67, v67, v61
	v_sub_f32_e32 v54, v20, v65
	v_mov_b32_e32 v61, v60
	v_fmac_f32_e32 v61, 0xbf737871, v54
	v_sub_f32_e32 v57, v21, v38
	v_sub_f32_e32 v58, v22, v39
	;; [unrolled: 1-line block ×3, first 2 shown]
	v_fmac_f32_e32 v60, 0x3f737871, v54
	v_fmac_f32_e32 v61, 0xbf167918, v57
	v_add_f32_e32 v58, v58, v62
	v_fmac_f32_e32 v60, 0x3f167918, v57
	v_fmac_f32_e32 v61, 0x3e9e377a, v58
	;; [unrolled: 1-line block ×3, first 2 shown]
	v_add_f32_e32 v58, v22, v64
	v_fmac_f32_e32 v23, -0.5, v58
	v_mov_b32_e32 v62, v23
	v_fmac_f32_e32 v62, 0x3f737871, v57
	v_fmac_f32_e32 v23, 0xbf737871, v57
	;; [unrolled: 1-line block ×4, first 2 shown]
	v_add_f32_e32 v54, v24, v20
	v_add_f32_e32 v54, v54, v21
	;; [unrolled: 1-line block ×3, first 2 shown]
	v_sub_f32_e32 v58, v39, v22
	v_sub_f32_e32 v63, v40, v64
	v_add_f32_e32 v73, v54, v65
	v_add_f32_e32 v54, v21, v38
	;; [unrolled: 1-line block ×3, first 2 shown]
	v_fma_f32 v63, -0.5, v54, v24
	v_sub_f32_e32 v22, v22, v64
	v_mov_b32_e32 v74, v63
	v_fmac_f32_e32 v74, 0x3f737871, v22
	v_sub_f32_e32 v39, v39, v40
	v_sub_f32_e32 v40, v20, v21
	;; [unrolled: 1-line block ×3, first 2 shown]
	v_fmac_f32_e32 v63, 0xbf737871, v22
	v_fmac_f32_e32 v74, 0x3f167918, v39
	v_add_f32_e32 v40, v40, v54
	v_fmac_f32_e32 v63, 0xbf167918, v39
	v_fmac_f32_e32 v74, 0x3e9e377a, v40
	;; [unrolled: 1-line block ×3, first 2 shown]
	v_add_f32_e32 v40, v20, v65
	v_fmac_f32_e32 v24, -0.5, v40
	v_mov_b32_e32 v40, v24
	v_fmac_f32_e32 v40, 0xbf737871, v39
	v_sub_f32_e32 v20, v21, v20
	v_sub_f32_e32 v21, v38, v65
	v_fmac_f32_e32 v24, 0x3f737871, v39
	v_fmac_f32_e32 v40, 0x3f167918, v22
	v_add_f32_e32 v20, v20, v21
	v_fmac_f32_e32 v24, 0xbf167918, v22
	v_fmac_f32_e32 v40, 0x3e9e377a, v20
	;; [unrolled: 1-line block ×5, first 2 shown]
	v_mul_f32_e32 v39, 0xbf737871, v40
	v_mul_f32_e32 v77, 0xbe9e377a, v24
	v_fmac_f32_e32 v39, 0x3e9e377a, v62
	v_mul_f32_e32 v75, 0xbf737871, v24
	v_mul_f32_e32 v40, 0x3e9e377a, v40
	v_fmac_f32_e32 v77, 0x3f737871, v23
	v_mul_f32_e32 v38, 0xbf167918, v74
	v_add_f32_e32 v57, v70, v39
	v_fmac_f32_e32 v75, 0xbe9e377a, v23
	v_fmac_f32_e32 v40, 0x3f737871, v62
	v_add_f32_e32 v23, v9, v77
	v_sub_f32_e32 v62, v70, v39
	v_sub_f32_e32 v39, v9, v77
	v_mul_u32_u24_e32 v9, 0x190, v13
	v_mov_b32_e32 v13, 2
	v_add_f32_e32 v41, v46, v78
	v_sub_f32_e32 v46, v46, v78
	v_fmac_f32_e32 v38, 0x3f4f1bbd, v61
	v_mul_f32_e32 v76, 0xbf167918, v63
	v_mul_f32_e32 v74, 0x3f4f1bbd, v74
	;; [unrolled: 1-line block ×3, first 2 shown]
	v_lshlrev_b32_sdwa v5, v13, v5 dst_sel:DWORD dst_unused:UNUSED_PAD src0_sel:DWORD src1_sel:BYTE_0
	v_add_f32_e32 v64, v37, v59
	v_add_f32_e32 v65, v68, v38
	v_fmac_f32_e32 v76, 0xbf4f1bbd, v60
	v_fmac_f32_e32 v74, 0x3f167918, v61
	;; [unrolled: 1-line block ×3, first 2 shown]
	v_add3_u32 v5, 0, v9, v5
	v_add_f32_e32 v58, v36, v75
	v_add_f32_e32 v54, v66, v76
	;; [unrolled: 1-line block ×6, first 2 shown]
	v_sub_f32_e32 v63, v37, v59
	v_sub_f32_e32 v60, v68, v38
	v_sub_f32_e32 v59, v36, v75
	v_sub_f32_e32 v61, v66, v76
	v_sub_f32_e32 v36, v67, v73
	v_sub_f32_e32 v37, v71, v74
	v_sub_f32_e32 v38, v72, v40
	v_sub_f32_e32 v40, v69, v78
	ds_write2_b32 v5, v55, v56 offset1:10
	ds_write2_b32 v5, v42, v43 offset0:20 offset1:30
	ds_write2_b32 v5, v41, v53 offset0:40 offset1:50
	ds_write2_b32 v5, v45, v52 offset0:60 offset1:70
	ds_write2_b32 v5, v44, v46 offset0:80 offset1:90
	ds_write2_b32 v6, v64, v65 offset1:10
	ds_write2_b32 v6, v57, v58 offset0:20 offset1:30
	ds_write2_b32 v6, v54, v63 offset0:40 offset1:50
	ds_write2_b32 v6, v60, v62 offset0:60 offset1:70
	ds_write2_b32 v6, v59, v61 offset0:80 offset1:90
	s_waitcnt lgkmcnt(0)
	s_barrier
	ds_read_b32 v13, v30
	ds_read_b32 v7, v31
	;; [unrolled: 1-line block ×3, first 2 shown]
	ds_read2_b32 v[44:45], v25 offset0:40 offset1:240
	ds_read2_b32 v[64:65], v28 offset0:24 offset1:224
	;; [unrolled: 1-line block ×7, first 2 shown]
	ds_read_b32 v9, v35
	ds_read_b32 v46, v30 offset:2400
	ds_read_b32 v43, v30 offset:15200
	s_waitcnt lgkmcnt(0)
	s_barrier
	ds_write2_b32 v5, v18, v19 offset1:10
	ds_write2_b32 v5, v15, v16 offset0:20 offset1:30
	ds_write2_b32 v5, v14, v17 offset0:40 offset1:50
	;; [unrolled: 1-line block ×4, first 2 shown]
	ds_write2_b32 v6, v20, v21 offset1:10
	ds_write2_b32 v6, v22, v23 offset0:20 offset1:30
	ds_write2_b32 v6, v24, v36 offset0:40 offset1:50
	;; [unrolled: 1-line block ×4, first 2 shown]
	v_add_u32_e32 v5, 0xffffff9c, v47
	v_cndmask_b32_e64 v8, v5, v47, s[0:1]
	v_mul_i32_i24_e32 v5, 9, v8
	v_mov_b32_e32 v6, 0
	v_lshlrev_b64 v[14:15], 3, v[5:6]
	v_mov_b32_e32 v5, s13
	v_add_co_u32_e64 v56, s[0:1], s12, v14
	v_addc_co_u32_e64 v57, s[0:1], v5, v15, s[0:1]
	s_waitcnt lgkmcnt(0)
	s_barrier
	ds_read_b32 v11, v30
	ds_read_b32 v19, v31
	;; [unrolled: 1-line block ×3, first 2 shown]
	ds_read2_b32 v[40:41], v25 offset0:40 offset1:240
	ds_read2_b32 v[77:78], v28 offset0:24 offset1:224
	;; [unrolled: 1-line block ×7, first 2 shown]
	ds_read_b32 v10, v35
	ds_read_b32 v66, v30 offset:2400
	ds_read_b32 v89, v30 offset:15200
	global_load_dwordx4 v[36:39], v[56:57], off offset:768
	global_load_dwordx4 v[21:24], v[56:57], off offset:752
	;; [unrolled: 1-line block ×4, first 2 shown]
	s_movk_i32 s0, 0x63
	v_cmp_lt_u32_e64 s[0:1], s0, v47
	v_lshlrev_b32_e32 v8, 2, v8
	s_waitcnt vmcnt(1) lgkmcnt(8)
	v_mul_f32_e32 v92, v78, v18
	s_waitcnt vmcnt(0)
	v_mul_f32_e32 v5, v7, v53
	v_fma_f32 v14, v19, v52, -v5
	v_mul_f32_e32 v5, v42, v55
	v_mul_f32_e32 v12, v19, v53
	v_fma_f32 v91, v20, v54, -v5
	v_mul_f32_e32 v19, v41, v16
	v_mul_f32_e32 v5, v45, v16
	v_fmac_f32_e32 v19, v45, v15
	v_fma_f32 v15, v41, v15, -v5
	v_mul_f32_e32 v5, v65, v18
	v_fmac_f32_e32 v92, v65, v17
	v_fma_f32 v65, v78, v17, -v5
	v_mul_f32_e32 v5, v68, v22
	s_waitcnt lgkmcnt(7)
	v_fma_f32 v16, v80, v21, -v5
	s_waitcnt lgkmcnt(6)
	v_mul_f32_e32 v78, v82, v24
	v_mul_f32_e32 v5, v70, v24
	v_fmac_f32_e32 v78, v70, v23
	v_fma_f32 v70, v82, v23, -v5
	global_load_dwordx2 v[23:24], v[56:57], off offset:784
	v_mul_f32_e32 v90, v20, v55
	v_mul_f32_e32 v20, v80, v22
	v_fmac_f32_e32 v20, v68, v21
	s_waitcnt lgkmcnt(5)
	v_mul_f32_e32 v21, v84, v37
	v_mul_f32_e32 v5, v72, v37
	v_fmac_f32_e32 v21, v72, v36
	v_fma_f32 v17, v84, v36, -v5
	s_waitcnt lgkmcnt(4)
	v_mul_f32_e32 v72, v86, v39
	v_mul_f32_e32 v5, v74, v39
	v_fmac_f32_e32 v72, v74, v38
	v_fma_f32 v74, v86, v38, -v5
	v_fmac_f32_e32 v12, v7, v52
	v_fmac_f32_e32 v90, v42, v54
	s_waitcnt vmcnt(0)
	v_mul_f32_e32 v5, v76, v24
	s_waitcnt lgkmcnt(3)
	v_fma_f32 v18, v88, v23, -v5
	v_lshrrev_b16_e32 v5, 2, v49
	v_mul_u32_u24_e32 v5, 0x147b, v5
	v_lshrrev_b32_e32 v5, 17, v5
	v_mul_lo_u16_e32 v7, 0x64, v5
	v_mul_f32_e32 v22, v88, v24
	v_sub_u16_e32 v7, v49, v7
	v_fmac_f32_e32 v22, v76, v23
	v_mul_u32_u24_e32 v23, 9, v7
	v_lshlrev_b32_e32 v23, 3, v23
	global_load_dwordx4 v[36:39], v23, s[12:13] offset:768
	global_load_dwordx4 v[56:59], v23, s[12:13] offset:752
	;; [unrolled: 1-line block ×4, first 2 shown]
	v_mul_u32_u24_e32 v5, 0xfa0, v5
	v_lshlrev_b32_e32 v7, 2, v7
	v_add3_u32 v5, 0, v5, v7
	s_waitcnt vmcnt(2)
	v_mul_f32_e32 v68, v83, v59
	v_fmac_f32_e32 v68, v71, v58
	s_waitcnt vmcnt(0)
	v_mul_f32_e32 v24, v46, v53
	s_waitcnt lgkmcnt(1)
	v_fma_f32 v42, v66, v52, -v24
	v_mul_f32_e32 v24, v44, v55
	v_fma_f32 v45, v40, v54, -v24
	v_mul_f32_e32 v24, v64, v61
	v_mul_f32_e32 v41, v66, v53
	;; [unrolled: 1-line block ×3, first 2 shown]
	v_fma_f32 v40, v77, v60, -v24
	v_mul_f32_e32 v66, v79, v63
	v_mul_f32_e32 v24, v67, v63
	v_fmac_f32_e32 v66, v67, v62
	v_fma_f32 v62, v79, v62, -v24
	v_mul_f32_e32 v24, v69, v57
	v_fmac_f32_e32 v41, v46, v52
	v_fma_f32 v52, v81, v56, -v24
	v_mul_f32_e32 v24, v71, v59
	v_fma_f32 v63, v83, v58, -v24
	v_mul_f32_e32 v24, v73, v37
	v_fmac_f32_e32 v53, v44, v54
	v_fma_f32 v54, v85, v36, -v24
	v_mul_f32_e32 v24, v75, v39
	v_fma_f32 v67, v87, v38, -v24
	global_load_dwordx2 v[23:24], v23, s[12:13] offset:784
	v_mul_f32_e32 v55, v81, v57
	v_fmac_f32_e32 v55, v69, v56
	v_mul_f32_e32 v56, v85, v37
	v_fmac_f32_e32 v56, v73, v36
	v_mul_f32_e32 v69, v87, v39
	v_sub_f32_e32 v36, v91, v74
	v_fmac_f32_e32 v69, v75, v38
	v_sub_f32_e32 v38, v65, v70
	v_sub_f32_e32 v39, v90, v92
	v_mul_f32_e32 v46, v77, v61
	v_sub_f32_e32 v44, v19, v20
	v_sub_f32_e32 v59, v22, v21
	v_add_f32_e32 v44, v44, v59
	v_fmac_f32_e32 v46, v64, v60
	v_sub_f32_e32 v60, v21, v22
	s_waitcnt vmcnt(0) lgkmcnt(0)
	s_barrier
	v_mul_f32_e32 v71, v89, v24
	v_mul_f32_e32 v24, v43, v24
	v_fma_f32 v73, v89, v23, -v24
	v_add_f32_e32 v24, v92, v78
	v_fma_f32 v24, -0.5, v24, v13
	v_mov_b32_e32 v37, v24
	v_fmac_f32_e32 v71, v43, v23
	v_fmac_f32_e32 v37, 0xbf737871, v36
	v_sub_f32_e32 v43, v72, v78
	v_fmac_f32_e32 v24, 0x3f737871, v36
	v_fmac_f32_e32 v37, 0xbf167918, v38
	v_add_f32_e32 v39, v39, v43
	v_fmac_f32_e32 v24, 0x3f167918, v38
	v_fmac_f32_e32 v37, 0x3e9e377a, v39
	;; [unrolled: 1-line block ×3, first 2 shown]
	v_add_f32_e32 v39, v90, v72
	v_add_f32_e32 v23, v13, v90
	v_fmac_f32_e32 v13, -0.5, v39
	v_mov_b32_e32 v58, v13
	v_fmac_f32_e32 v58, 0x3f737871, v38
	v_fmac_f32_e32 v13, 0xbf737871, v38
	v_fmac_f32_e32 v58, 0xbf167918, v36
	v_fmac_f32_e32 v13, 0x3f167918, v36
	v_add_f32_e32 v36, v11, v91
	v_add_f32_e32 v36, v36, v65
	;; [unrolled: 1-line block ×7, first 2 shown]
	v_sub_f32_e32 v39, v92, v90
	v_sub_f32_e32 v43, v78, v72
	v_fma_f32 v76, -0.5, v36, v11
	v_add_f32_e32 v23, v23, v72
	v_add_f32_e32 v39, v39, v43
	v_sub_f32_e32 v36, v90, v72
	v_mov_b32_e32 v72, v76
	v_fmac_f32_e32 v58, 0x3e9e377a, v39
	v_fmac_f32_e32 v13, 0x3e9e377a, v39
	;; [unrolled: 1-line block ×3, first 2 shown]
	v_sub_f32_e32 v38, v92, v78
	v_sub_f32_e32 v39, v91, v65
	;; [unrolled: 1-line block ×3, first 2 shown]
	v_fmac_f32_e32 v76, 0xbf737871, v36
	v_fmac_f32_e32 v72, 0x3f167918, v38
	v_add_f32_e32 v39, v39, v43
	v_fmac_f32_e32 v76, 0xbf167918, v38
	v_fmac_f32_e32 v72, 0x3e9e377a, v39
	;; [unrolled: 1-line block ×3, first 2 shown]
	v_add_f32_e32 v39, v91, v74
	v_fmac_f32_e32 v11, -0.5, v39
	v_mov_b32_e32 v77, v11
	v_fmac_f32_e32 v77, 0xbf737871, v38
	v_fmac_f32_e32 v11, 0x3f737871, v38
	;; [unrolled: 1-line block ×4, first 2 shown]
	v_add_f32_e32 v36, v12, v19
	v_add_f32_e32 v36, v36, v20
	;; [unrolled: 1-line block ×3, first 2 shown]
	v_sub_f32_e32 v39, v65, v91
	v_sub_f32_e32 v43, v70, v74
	v_add_f32_e32 v57, v36, v22
	v_add_f32_e32 v36, v20, v21
	v_add_f32_e32 v39, v39, v43
	v_fma_f32 v36, -0.5, v36, v12
	v_fmac_f32_e32 v77, 0x3e9e377a, v39
	v_fmac_f32_e32 v11, 0x3e9e377a, v39
	v_sub_f32_e32 v38, v15, v18
	v_mov_b32_e32 v39, v36
	v_fmac_f32_e32 v39, 0xbf737871, v38
	v_sub_f32_e32 v43, v16, v17
	v_fmac_f32_e32 v36, 0x3f737871, v38
	v_fmac_f32_e32 v39, 0xbf167918, v43
	;; [unrolled: 1-line block ×5, first 2 shown]
	v_add_f32_e32 v44, v19, v22
	v_fmac_f32_e32 v12, -0.5, v44
	v_mov_b32_e32 v59, v12
	v_fmac_f32_e32 v59, 0x3f737871, v43
	v_fmac_f32_e32 v12, 0xbf737871, v43
	;; [unrolled: 1-line block ×4, first 2 shown]
	v_add_f32_e32 v38, v14, v15
	v_add_f32_e32 v38, v38, v16
	;; [unrolled: 1-line block ×5, first 2 shown]
	v_fma_f32 v74, -0.5, v38, v14
	v_sub_f32_e32 v44, v20, v19
	v_sub_f32_e32 v19, v19, v22
	v_mov_b32_e32 v22, v74
	v_fmac_f32_e32 v22, 0x3f737871, v19
	v_sub_f32_e32 v20, v20, v21
	v_sub_f32_e32 v21, v15, v16
	;; [unrolled: 1-line block ×3, first 2 shown]
	v_fmac_f32_e32 v74, 0xbf737871, v19
	v_fmac_f32_e32 v22, 0x3f167918, v20
	v_add_f32_e32 v21, v21, v38
	v_fmac_f32_e32 v74, 0xbf167918, v20
	v_fmac_f32_e32 v22, 0x3e9e377a, v21
	;; [unrolled: 1-line block ×3, first 2 shown]
	v_add_f32_e32 v21, v15, v18
	v_fmac_f32_e32 v14, -0.5, v21
	v_mov_b32_e32 v21, v14
	v_sub_f32_e32 v15, v16, v15
	v_sub_f32_e32 v16, v17, v18
	v_fmac_f32_e32 v14, 0x3f737871, v20
	v_add_f32_e32 v15, v15, v16
	v_fmac_f32_e32 v14, 0xbf167918, v19
	v_add_f32_e32 v44, v44, v60
	v_fmac_f32_e32 v21, 0xbf737871, v20
	v_fmac_f32_e32 v14, 0x3e9e377a, v15
	;; [unrolled: 1-line block ×4, first 2 shown]
	v_mul_f32_e32 v17, 0xbf737871, v14
	v_mul_f32_e32 v19, 0xbf167918, v74
	;; [unrolled: 1-line block ×3, first 2 shown]
	v_fmac_f32_e32 v21, 0x3e9e377a, v15
	v_mul_f32_e32 v15, 0xbf167918, v22
	v_fmac_f32_e32 v19, 0xbf4f1bbd, v36
	v_mul_f32_e32 v20, 0x3f4f1bbd, v22
	v_fmac_f32_e32 v14, 0x3f737871, v12
	v_fmac_f32_e32 v15, 0x3f4f1bbd, v39
	v_add_f32_e32 v18, v24, v19
	v_fmac_f32_e32 v20, 0x3f167918, v39
	v_add_f32_e32 v39, v11, v14
	v_sub_f32_e32 v24, v24, v19
	v_sub_f32_e32 v19, v11, v14
	v_add_f32_e32 v11, v9, v53
	v_fmac_f32_e32 v59, 0x3e9e377a, v44
	v_mul_f32_e32 v16, 0xbf737871, v21
	v_fmac_f32_e32 v17, 0xbe9e377a, v12
	v_mul_f32_e32 v21, 0x3e9e377a, v21
	v_mul_f32_e32 v12, 0xbf4f1bbd, v74
	v_add_f32_e32 v11, v11, v66
	v_fmac_f32_e32 v21, 0x3f737871, v59
	v_fmac_f32_e32 v12, 0x3f167918, v36
	v_add_f32_e32 v11, v11, v68
	v_add_f32_e32 v38, v77, v21
	;; [unrolled: 1-line block ×3, first 2 shown]
	v_sub_f32_e32 v22, v77, v21
	v_sub_f32_e32 v21, v76, v12
	v_add_f32_e32 v12, v11, v69
	v_add_f32_e32 v11, v66, v68
	;; [unrolled: 1-line block ×4, first 2 shown]
	v_fmac_f32_e32 v16, 0x3e9e377a, v59
	v_add_f32_e32 v43, v75, v70
	v_sub_f32_e32 v59, v23, v57
	v_sub_f32_e32 v57, v37, v15
	;; [unrolled: 1-line block ×3, first 2 shown]
	v_fma_f32 v70, -0.5, v11, v9
	v_add_f32_e32 v61, v13, v17
	v_sub_f32_e32 v23, v13, v17
	v_sub_f32_e32 v11, v45, v67
	v_mov_b32_e32 v13, v70
	v_add_f32_e32 v60, v58, v16
	v_sub_f32_e32 v58, v58, v16
	v_fmac_f32_e32 v13, 0xbf737871, v11
	v_sub_f32_e32 v14, v62, v63
	v_sub_f32_e32 v15, v53, v66
	;; [unrolled: 1-line block ×3, first 2 shown]
	v_fmac_f32_e32 v70, 0x3f737871, v11
	v_fmac_f32_e32 v13, 0xbf167918, v14
	v_add_f32_e32 v15, v15, v16
	v_fmac_f32_e32 v70, 0x3f167918, v14
	v_fmac_f32_e32 v13, 0x3e9e377a, v15
	;; [unrolled: 1-line block ×3, first 2 shown]
	v_add_f32_e32 v15, v53, v69
	v_fmac_f32_e32 v9, -0.5, v15
	v_add_f32_e32 v44, v72, v20
	v_sub_f32_e32 v20, v72, v20
	v_mov_b32_e32 v72, v9
	v_fmac_f32_e32 v72, 0x3f737871, v14
	v_fmac_f32_e32 v9, 0xbf737871, v14
	;; [unrolled: 1-line block ×4, first 2 shown]
	v_add_f32_e32 v11, v10, v45
	v_add_f32_e32 v11, v11, v62
	;; [unrolled: 1-line block ×5, first 2 shown]
	v_sub_f32_e32 v15, v66, v53
	v_sub_f32_e32 v16, v68, v69
	v_fma_f32 v75, -0.5, v11, v10
	v_add_f32_e32 v15, v15, v16
	v_sub_f32_e32 v11, v53, v69
	v_mov_b32_e32 v53, v75
	v_fmac_f32_e32 v72, 0x3e9e377a, v15
	v_fmac_f32_e32 v9, 0x3e9e377a, v15
	;; [unrolled: 1-line block ×3, first 2 shown]
	v_sub_f32_e32 v14, v66, v68
	v_sub_f32_e32 v15, v45, v62
	;; [unrolled: 1-line block ×3, first 2 shown]
	v_fmac_f32_e32 v75, 0xbf737871, v11
	v_fmac_f32_e32 v53, 0x3f167918, v14
	v_add_f32_e32 v15, v15, v16
	v_fmac_f32_e32 v75, 0xbf167918, v14
	v_fmac_f32_e32 v53, 0x3e9e377a, v15
	;; [unrolled: 1-line block ×3, first 2 shown]
	v_add_f32_e32 v15, v45, v67
	v_fmac_f32_e32 v10, -0.5, v15
	v_mov_b32_e32 v66, v10
	v_fmac_f32_e32 v66, 0xbf737871, v14
	v_fmac_f32_e32 v10, 0x3f737871, v14
	;; [unrolled: 1-line block ×4, first 2 shown]
	v_add_f32_e32 v11, v41, v46
	v_add_f32_e32 v11, v11, v55
	v_sub_f32_e32 v15, v62, v45
	v_sub_f32_e32 v16, v63, v67
	v_add_f32_e32 v11, v11, v56
	v_add_f32_e32 v15, v15, v16
	;; [unrolled: 1-line block ×4, first 2 shown]
	v_fmac_f32_e32 v66, 0x3e9e377a, v15
	v_fmac_f32_e32 v10, 0x3e9e377a, v15
	v_fma_f32 v15, -0.5, v11, v41
	v_sub_f32_e32 v11, v40, v73
	v_mov_b32_e32 v45, v15
	v_fmac_f32_e32 v45, 0xbf737871, v11
	v_sub_f32_e32 v16, v52, v54
	v_sub_f32_e32 v17, v46, v55
	;; [unrolled: 1-line block ×3, first 2 shown]
	v_fmac_f32_e32 v15, 0x3f737871, v11
	v_fmac_f32_e32 v45, 0xbf167918, v16
	v_add_f32_e32 v17, v17, v62
	v_fmac_f32_e32 v15, 0x3f167918, v16
	v_fmac_f32_e32 v45, 0x3e9e377a, v17
	;; [unrolled: 1-line block ×3, first 2 shown]
	v_add_f32_e32 v17, v46, v71
	v_fmac_f32_e32 v41, -0.5, v17
	v_mov_b32_e32 v67, v41
	v_fmac_f32_e32 v67, 0x3f737871, v16
	v_fmac_f32_e32 v41, 0xbf737871, v16
	;; [unrolled: 1-line block ×4, first 2 shown]
	v_add_f32_e32 v11, v42, v40
	v_add_f32_e32 v11, v11, v52
	v_add_f32_e32 v11, v11, v54
	v_add_f32_e32 v68, v11, v73
	v_add_f32_e32 v11, v52, v54
	v_sub_f32_e32 v17, v55, v46
	v_sub_f32_e32 v62, v56, v71
	v_fma_f32 v69, -0.5, v11, v42
	v_add_f32_e32 v17, v17, v62
	v_sub_f32_e32 v11, v46, v71
	v_mov_b32_e32 v46, v69
	v_fmac_f32_e32 v67, 0x3e9e377a, v17
	v_fmac_f32_e32 v41, 0x3e9e377a, v17
	;; [unrolled: 1-line block ×3, first 2 shown]
	v_sub_f32_e32 v16, v55, v56
	v_sub_f32_e32 v17, v40, v52
	;; [unrolled: 1-line block ×3, first 2 shown]
	v_fmac_f32_e32 v69, 0xbf737871, v11
	v_fmac_f32_e32 v46, 0x3f167918, v16
	v_add_f32_e32 v17, v17, v55
	v_fmac_f32_e32 v69, 0xbf167918, v16
	v_fmac_f32_e32 v46, 0x3e9e377a, v17
	;; [unrolled: 1-line block ×3, first 2 shown]
	v_add_f32_e32 v17, v40, v73
	v_fmac_f32_e32 v42, -0.5, v17
	v_mov_b32_e32 v71, v42
	v_fmac_f32_e32 v71, 0xbf737871, v16
	v_sub_f32_e32 v17, v52, v40
	v_sub_f32_e32 v40, v54, v73
	v_fmac_f32_e32 v71, 0x3f167918, v11
	v_add_f32_e32 v17, v17, v40
	v_fmac_f32_e32 v42, 0x3f737871, v16
	v_fmac_f32_e32 v71, 0x3e9e377a, v17
	;; [unrolled: 1-line block ×4, first 2 shown]
	v_mul_f32_e32 v54, 0xbf737871, v71
	v_mul_f32_e32 v71, 0x3e9e377a, v71
	;; [unrolled: 1-line block ×3, first 2 shown]
	v_fmac_f32_e32 v54, 0x3e9e377a, v67
	v_mul_f32_e32 v46, 0x3f4f1bbd, v46
	v_fmac_f32_e32 v71, 0x3f737871, v67
	v_mul_f32_e32 v67, 0xbe9e377a, v42
	v_mul_f32_e32 v73, 0xbf737871, v42
	v_fmac_f32_e32 v46, 0x3f167918, v45
	v_fmac_f32_e32 v67, 0x3f737871, v41
	;; [unrolled: 1-line block ×3, first 2 shown]
	v_add_f32_e32 v56, v53, v46
	v_add_f32_e32 v41, v10, v67
	v_sub_f32_e32 v46, v53, v46
	v_sub_f32_e32 v53, v10, v67
	v_mov_b32_e32 v10, 0xfa0
	v_fmac_f32_e32 v52, 0x3f4f1bbd, v45
	v_cndmask_b32_e64 v10, 0, v10, s[0:1]
	v_add_f32_e32 v63, v13, v52
	v_mul_f32_e32 v76, 0xbf167918, v69
	v_add_f32_e32 v40, v66, v71
	v_mul_f32_e32 v69, 0xbf4f1bbd, v69
	v_sub_f32_e32 v13, v13, v52
	v_sub_f32_e32 v52, v66, v71
	v_add3_u32 v66, 0, v10, v8
	v_add_f32_e32 v62, v12, v14
	v_fmac_f32_e32 v76, 0xbf4f1bbd, v15
	v_add_f32_e32 v55, v74, v68
	v_fmac_f32_e32 v69, 0x3f167918, v15
	v_sub_f32_e32 v45, v74, v68
	ds_write2_b32 v66, v64, v65 offset1:100
	v_add_u32_e32 v64, 0x200, v66
	v_add_u32_e32 v65, 0x400, v66
	v_add_u32_e32 v67, 0x800, v66
	v_add_u32_e32 v68, 0xc00, v66
	v_add_f32_e32 v16, v72, v54
	v_add_f32_e32 v17, v9, v73
	;; [unrolled: 1-line block ×4, first 2 shown]
	v_sub_f32_e32 v15, v12, v14
	v_sub_f32_e32 v14, v72, v54
	;; [unrolled: 1-line block ×5, first 2 shown]
	ds_write2_b32 v64, v60, v61 offset0:72 offset1:172
	ds_write2_b32 v65, v18, v59 offset0:144 offset1:244
	;; [unrolled: 1-line block ×4, first 2 shown]
	ds_write2_b32 v5, v62, v63 offset1:100
	v_add_u32_e32 v63, 0x200, v5
	v_add_u32_e32 v69, 0x400, v5
	v_add_u32_e32 v70, 0x800, v5
	v_add_u32_e32 v71, 0xc00, v5
	ds_write2_b32 v63, v16, v17 offset0:72 offset1:172
	ds_write2_b32 v69, v11, v15 offset0:144 offset1:244
	;; [unrolled: 1-line block ×4, first 2 shown]
	s_waitcnt lgkmcnt(0)
	s_barrier
	ds_read_b32 v57, v30
	ds_read2_b32 v[7:8], v25 offset0:40 offset1:240
	ds_read2_b32 v[11:12], v33 offset0:8 offset1:208
	;; [unrolled: 1-line block ×3, first 2 shown]
	ds_read_b32 v35, v35
	ds_read2_b32 v[13:14], v27 offset0:24 offset1:224
	ds_read_b32 v58, v31
	ds_read2_b32 v[17:18], v28 offset0:24 offset1:224
	ds_read2_b32 v[15:16], v29 offset0:8 offset1:208
	v_lshl_add_u32 v62, v51, 2, 0
	ds_read_b32 v59, v62
	ds_read2_b32 v[23:24], v34 offset0:40 offset1:240
	ds_read_b32 v60, v32
	ds_read_b32 v61, v30 offset:15200
	s_waitcnt lgkmcnt(0)
	s_barrier
	ds_write2_b32 v66, v43, v44 offset1:100
	ds_write2_b32 v64, v38, v39 offset0:72 offset1:172
	ds_write2_b32 v65, v36, v37 offset0:144 offset1:244
	;; [unrolled: 1-line block ×4, first 2 shown]
	ds_write2_b32 v5, v55, v56 offset1:100
	ds_write2_b32 v63, v40, v41 offset0:72 offset1:172
	ds_write2_b32 v69, v42, v45 offset0:144 offset1:244
	;; [unrolled: 1-line block ×4, first 2 shown]
	s_waitcnt lgkmcnt(0)
	s_barrier
	s_and_saveexec_b64 s[0:1], vcc
	s_cbranch_execz .LBB0_15
; %bb.14:
	v_mul_i32_i24_e32 v5, 3, v50
	v_lshlrev_b64 v[19:20], 3, v[5:6]
	v_mov_b32_e32 v56, s13
	v_add_co_u32_e32 v5, vcc, s12, v19
	v_addc_co_u32_e32 v37, vcc, v56, v20, vcc
	s_movk_i32 s7, 0x1ef0
	v_add_co_u32_e32 v36, vcc, s7, v5
	s_movk_i32 s8, 0x1000
	s_mov_b64 s[0:1], vcc
	v_add_co_u32_e32 v19, vcc, s8, v5
	v_addc_co_u32_e32 v20, vcc, 0, v37, vcc
	v_addc_co_u32_e64 v37, vcc, 0, v37, s[0:1]
	v_mul_i32_i24_e32 v5, 3, v51
	global_load_dwordx4 v[19:22], v[19:20], off offset:3824
	v_mad_u64_u32 v[50:51], s[0:1], s4, v3, 0
	global_load_dwordx2 v[40:41], v[36:37], off offset:16
	v_lshlrev_b64 v[36:37], 3, v[5:6]
	v_mul_i32_i24_e32 v70, 0xffffffdc, v49
	v_add_co_u32_e32 v5, vcc, s12, v36
	v_addc_co_u32_e32 v43, vcc, v56, v37, vcc
	v_add_co_u32_e32 v36, vcc, s8, v5
	v_addc_co_u32_e32 v37, vcc, 0, v43, vcc
	global_load_dwordx4 v[36:39], v[36:37], off offset:3824
	v_add_co_u32_e32 v42, vcc, s7, v5
	v_addc_co_u32_e32 v43, vcc, 0, v43, vcc
	global_load_dwordx2 v[44:45], v[42:43], off offset:16
	v_mul_i32_i24_e32 v5, 3, v48
	v_mul_lo_u32 v42, s5, v3
	v_mul_lo_u32 v43, s4, v4
	v_lshlrev_b64 v[3:4], 3, v[5:6]
	ds_read2_b32 v[52:53], v34 offset0:40 offset1:240
	ds_read2_b32 v[54:55], v33 offset0:8 offset1:208
	ds_read_b32 v34, v62
	ds_read_b32 v46, v32
	;; [unrolled: 1-line block ×3, first 2 shown]
	ds_read_b32 v64, v30 offset:15200
	ds_read_b32 v72, v30
	v_add_co_u32_e32 v5, vcc, s12, v3
	v_addc_co_u32_e32 v30, vcc, v56, v4, vcc
	v_add_co_u32_e32 v3, vcc, s7, v5
	v_addc_co_u32_e32 v4, vcc, 0, v30, vcc
	v_add3_u32 v51, v51, v43, v42
	v_add_co_u32_e32 v42, vcc, s8, v5
	v_addc_co_u32_e32 v43, vcc, 0, v30, vcc
	global_load_dwordx4 v[30:33], v[42:43], off offset:3824
	global_load_dwordx2 v[62:63], v[3:4], off offset:16
	v_add_u32_e32 v0, v0, v70
	s_mov_b32 s0, 0x10624dd3
	s_waitcnt vmcnt(5)
	v_mul_f32_e32 v3, v24, v22
	v_mul_f32_e32 v5, v11, v19
	s_waitcnt lgkmcnt(6)
	v_mul_f32_e32 v22, v53, v22
	s_waitcnt vmcnt(4)
	v_mul_f32_e32 v4, v61, v40
	v_mul_f32_e32 v11, v11, v20
	;; [unrolled: 1-line block ×3, first 2 shown]
	s_waitcnt lgkmcnt(5)
	v_fmac_f32_e32 v5, v54, v20
	s_waitcnt lgkmcnt(1)
	v_fmac_f32_e32 v4, v64, v41
	v_fmac_f32_e32 v22, v24, v21
	v_fma_f32 v3, v53, v21, -v3
	v_fma_f32 v11, v54, v19, -v11
	;; [unrolled: 1-line block ×3, first 2 shown]
	v_sub_f32_e32 v21, v5, v4
	v_sub_f32_e32 v24, v60, v22
	;; [unrolled: 1-line block ×3, first 2 shown]
	v_fma_f32 v41, v60, 2.0, -v24
	v_fma_f32 v5, v5, 2.0, -v21
	v_sub_f32_e32 v20, v46, v3
	v_add_f32_e32 v3, v24, v19
	v_fma_f32 v11, v11, 2.0, -v19
	v_sub_f32_e32 v19, v41, v5
	s_waitcnt vmcnt(3)
	v_mul_f32_e32 v5, v23, v39
	v_sub_f32_e32 v4, v20, v21
	v_fma_f32 v40, v46, 2.0, -v20
	v_fma_f32 v5, v52, v38, -v5
	v_fma_f32 v22, v20, 2.0, -v4
	v_sub_f32_e32 v20, v40, v11
	v_sub_f32_e32 v11, v34, v5
	v_mul_i32_i24_e32 v5, 3, v49
	v_lshlrev_b64 v[5:6], 3, v[5:6]
	v_fma_f32 v21, v24, 2.0, -v3
	v_add_co_u32_e32 v24, vcc, s12, v5
	v_addc_co_u32_e32 v46, vcc, v56, v6, vcc
	v_add_co_u32_e32 v5, vcc, s8, v24
	v_addc_co_u32_e32 v6, vcc, 0, v46, vcc
	v_fma_f32 v54, v40, 2.0, -v20
	v_fma_f32 v53, v41, 2.0, -v19
	global_load_dwordx4 v[40:43], v[5:6], off offset:3824
	ds_read2_b32 v[5:6], v28 offset0:24 offset1:224
	ds_read2_b32 v[28:29], v29 offset0:8 offset1:208
	v_add_co_u32_e32 v48, vcc, s7, v24
	v_mul_f32_e32 v64, v18, v36
	v_mul_f32_e32 v18, v18, v37
	v_addc_co_u32_e32 v49, vcc, 0, v46, vcc
	s_waitcnt lgkmcnt(1)
	v_fmac_f32_e32 v64, v6, v37
	v_fma_f32 v6, v6, v36, -v18
	v_mul_u32_u24_e32 v18, 3, v47
	global_load_dwordx2 v[48:49], v[48:49], off offset:16
	v_lshlrev_b32_e32 v18, 3, v18
	v_mul_f32_e32 v39, v52, v39
	v_add_co_u32_e32 v18, vcc, s12, v18
	v_fmac_f32_e32 v39, v23, v38
	v_addc_co_u32_e32 v23, vcc, 0, v56, vcc
	v_add_co_u32_e32 v36, vcc, s8, v18
	v_addc_co_u32_e32 v37, vcc, 0, v23, vcc
	v_sub_f32_e32 v52, v59, v39
	global_load_dwordx4 v[36:39], v[36:37], off offset:3824
	v_add_co_u32_e32 v60, vcc, s7, v18
	v_addc_co_u32_e32 v61, vcc, 0, v23, vcc
	global_load_dwordx2 v[60:61], v[60:61], off offset:16
	s_waitcnt vmcnt(6)
	v_mul_f32_e32 v24, v16, v44
	s_waitcnt lgkmcnt(0)
	v_fmac_f32_e32 v24, v29, v45
	v_mul_f32_e32 v16, v16, v45
	v_sub_f32_e32 v66, v64, v24
	v_fma_f32 v16, v29, v44, -v16
	v_sub_f32_e32 v24, v11, v66
	v_sub_f32_e32 v16, v6, v16
	v_fma_f32 v46, v11, 2.0, -v24
	v_fma_f32 v11, v34, 2.0, -v11
	;; [unrolled: 1-line block ×3, first 2 shown]
	ds_read2_b32 v[68:69], v27 offset0:24 offset1:224
	v_sub_f32_e32 v65, v11, v6
	v_fma_f32 v67, v11, 2.0, -v65
	v_fma_f32 v6, v59, 2.0, -v52
	;; [unrolled: 1-line block ×3, first 2 shown]
	v_sub_f32_e32 v64, v6, v11
	v_fma_f32 v66, v6, 2.0, -v64
	s_waitcnt vmcnt(5)
	v_mul_f32_e32 v6, v14, v33
	s_waitcnt lgkmcnt(0)
	v_fma_f32 v6, v69, v32, -v6
	v_sub_f32_e32 v11, v71, v6
	v_mul_f32_e32 v27, v17, v30
	s_waitcnt vmcnt(4)
	v_mul_f32_e32 v6, v15, v62
	v_mul_f32_e32 v17, v17, v31
	v_fmac_f32_e32 v27, v5, v31
	v_fmac_f32_e32 v6, v28, v63
	v_mul_f32_e32 v18, v69, v33
	v_fma_f32 v17, v5, v30, -v17
	v_mul_f32_e32 v5, v15, v63
	v_sub_f32_e32 v29, v27, v6
	v_fmac_f32_e32 v18, v14, v32
	v_fma_f32 v5, v28, v62, -v5
	v_sub_f32_e32 v6, v11, v29
	v_sub_f32_e32 v14, v58, v18
	;; [unrolled: 1-line block ×3, first 2 shown]
	v_add_f32_e32 v23, v52, v16
	v_fma_f32 v16, v11, 2.0, -v6
	v_fma_f32 v11, v71, 2.0, -v11
	;; [unrolled: 1-line block ×3, first 2 shown]
	v_add_f32_e32 v5, v14, v18
	v_sub_f32_e32 v18, v11, v17
	ds_read_b32 v0, v0
	v_fma_f32 v15, v14, 2.0, -v5
	v_fma_f32 v28, v11, 2.0, -v18
	;; [unrolled: 1-line block ×4, first 2 shown]
	ds_read2_b32 v[29:30], v25 offset0:40 offset1:240
	ds_read2_b32 v[25:26], v26 offset0:24 offset1:224
	v_sub_f32_e32 v17, v11, v14
	v_fma_f32 v27, v11, 2.0, -v17
	v_fma_f32 v45, v52, 2.0, -v23
	s_waitcnt vmcnt(3)
	v_mul_f32_e32 v11, v13, v43
	v_fma_f32 v11, v68, v42, -v11
	s_waitcnt lgkmcnt(2)
	v_sub_f32_e32 v31, v0, v11
	v_mul_f32_e32 v32, v8, v40
	v_mul_f32_e32 v8, v8, v41
	s_waitcnt lgkmcnt(1)
	v_fmac_f32_e32 v32, v30, v41
	v_fma_f32 v8, v30, v40, -v8
	v_mul_f32_e32 v33, v68, v43
	v_fmac_f32_e32 v33, v13, v42
	v_fma_f32 v0, v0, 2.0, -v31
	v_sub_f32_e32 v42, v35, v33
	s_waitcnt vmcnt(2)
	v_mul_f32_e32 v11, v10, v48
	v_mul_f32_e32 v10, v10, v49
	s_waitcnt lgkmcnt(0)
	v_fmac_f32_e32 v11, v26, v49
	v_fma_f32 v10, v26, v48, -v10
	v_sub_f32_e32 v34, v32, v11
	v_sub_f32_e32 v26, v8, v10
	;; [unrolled: 1-line block ×3, first 2 shown]
	v_fma_f32 v8, v8, 2.0, -v26
	v_fma_f32 v14, v31, 2.0, -v11
	v_sub_f32_e32 v31, v0, v8
	v_fma_f32 v33, v0, 2.0, -v31
	v_fma_f32 v0, v35, 2.0, -v42
	;; [unrolled: 1-line block ×3, first 2 shown]
	s_waitcnt vmcnt(1)
	v_mul_f32_e32 v34, v55, v39
	v_sub_f32_e32 v30, v0, v8
	v_fmac_f32_e32 v34, v12, v38
	v_fma_f32 v32, v0, 2.0, -v30
	v_mul_f32_e32 v0, v12, v39
	v_mul_f32_e32 v40, v7, v36
	v_sub_f32_e32 v12, v57, v34
	v_mul_f32_e32 v7, v7, v37
	v_mul_hi_u32 v34, v47, s0
	v_fmac_f32_e32 v40, v29, v37
	v_fma_f32 v29, v29, v36, -v7
	s_waitcnt vmcnt(0)
	v_mul_f32_e32 v7, v9, v61
	v_fma_f32 v7, v25, v60, -v7
	v_mul_f32_e32 v8, v9, v60
	v_sub_f32_e32 v9, v29, v7
	v_add_f32_e32 v7, v12, v9
	v_fma_f32 v9, v29, 2.0, -v9
	v_lshrrev_b32_e32 v29, 6, v34
	v_mul_u32_u24_e32 v29, 0x3e8, v29
	v_fma_f32 v0, v55, v38, -v0
	v_fmac_f32_e32 v8, v25, v61
	v_sub_u32_e32 v29, v47, v29
	v_sub_f32_e32 v0, v72, v0
	v_sub_f32_e32 v41, v40, v8
	v_mad_u64_u32 v[34:35], s[4:5], s2, v29, 0
	v_sub_f32_e32 v8, v0, v41
	v_add_f32_e32 v10, v42, v26
	v_fma_f32 v26, v0, 2.0, -v8
	v_fma_f32 v0, v72, 2.0, -v0
	v_sub_f32_e32 v37, v0, v9
	v_fma_f32 v39, v0, 2.0, -v37
	v_mov_b32_e32 v0, v35
	v_fma_f32 v9, v57, 2.0, -v12
	v_mad_u64_u32 v[35:36], s[4:5], s3, v29, v[0:1]
	v_fma_f32 v0, v40, 2.0, -v41
	v_lshlrev_b64 v[40:41], 3, v[50:51]
	v_sub_f32_e32 v36, v9, v0
	v_fma_f32 v38, v9, 2.0, -v36
	v_mov_b32_e32 v0, s11
	v_add_co_u32_e32 v9, vcc, s10, v40
	v_fma_f32 v25, v12, 2.0, -v7
	v_addc_co_u32_e32 v12, vcc, v0, v41, vcc
	v_lshlrev_b64 v[0:1], 3, v[1:2]
	v_fma_f32 v13, v42, 2.0, -v10
	v_add_co_u32_e32 v43, vcc, v9, v0
	v_add_u32_e32 v9, 0x3e8, v29
	v_addc_co_u32_e32 v44, vcc, v12, v1, vcc
	v_lshlrev_b64 v[0:1], 3, v[34:35]
	v_mad_u64_u32 v[34:35], s[4:5], s2, v9, 0
	v_add_co_u32_e32 v0, vcc, v43, v0
	v_mov_b32_e32 v2, v35
	v_mad_u64_u32 v[40:41], s[4:5], s3, v9, v[2:3]
	v_add_u32_e32 v9, 0x7d0, v29
	v_mad_u64_u32 v[41:42], s[4:5], s2, v9, 0
	v_addc_co_u32_e32 v1, vcc, v44, v1, vcc
	v_mov_b32_e32 v35, v40
	global_store_dwordx2 v[0:1], v[38:39], off
	v_lshlrev_b64 v[0:1], 3, v[34:35]
	v_mov_b32_e32 v2, v42
	v_add_co_u32_e32 v0, vcc, v43, v0
	v_mad_u64_u32 v[34:35], s[4:5], s3, v9, v[2:3]
	v_addc_co_u32_e32 v1, vcc, v44, v1, vcc
	v_add_u32_e32 v9, 0xbb8, v29
	global_store_dwordx2 v[0:1], v[25:26], off
	v_mad_u64_u32 v[25:26], s[4:5], s2, v9, 0
	v_add_u32_e32 v12, 0xc8, v47
	v_mul_hi_u32 v29, v12, s0
	v_mov_b32_e32 v2, v26
	v_mov_b32_e32 v42, v34
	v_mad_u64_u32 v[34:35], s[4:5], s3, v9, v[2:3]
	v_lshlrev_b64 v[0:1], 3, v[41:42]
	v_lshrrev_b32_e32 v2, 6, v29
	v_add_co_u32_e32 v0, vcc, v43, v0
	v_addc_co_u32_e32 v1, vcc, v44, v1, vcc
	v_mul_u32_u24_e32 v9, 0x3e8, v2
	v_mov_b32_e32 v26, v34
	v_sub_u32_e32 v9, v12, v9
	global_store_dwordx2 v[0:1], v[36:37], off
	v_lshlrev_b64 v[0:1], 3, v[25:26]
	v_mad_u32_u24 v12, v2, s6, v9
	v_mad_u64_u32 v[38:39], s[4:5], s2, v12, 0
	v_add_co_u32_e32 v0, vcc, v43, v0
	v_addc_co_u32_e32 v1, vcc, v44, v1, vcc
	v_add_u32_e32 v9, 0x3e8, v12
	global_store_dwordx2 v[0:1], v[7:8], off
	v_mad_u64_u32 v[7:8], s[4:5], s2, v9, 0
	v_mov_b32_e32 v2, v39
	v_mad_u64_u32 v[25:26], s[4:5], s3, v12, v[2:3]
	v_mov_b32_e32 v2, v8
	v_mad_u64_u32 v[8:9], s[4:5], s3, v9, v[2:3]
	v_add_u32_e32 v9, 0x7d0, v12
	v_mov_b32_e32 v39, v25
	v_mad_u64_u32 v[25:26], s[4:5], s2, v9, 0
	v_lshlrev_b64 v[0:1], 3, v[38:39]
	v_add_co_u32_e32 v0, vcc, v43, v0
	v_addc_co_u32_e32 v1, vcc, v44, v1, vcc
	v_mov_b32_e32 v2, v26
	global_store_dwordx2 v[0:1], v[32:33], off
	v_lshlrev_b64 v[0:1], 3, v[7:8]
	v_mad_u64_u32 v[7:8], s[4:5], s3, v9, v[2:3]
	v_add_co_u32_e32 v0, vcc, v43, v0
	v_add_u32_e32 v9, 0xbb8, v12
	v_addc_co_u32_e32 v1, vcc, v44, v1, vcc
	v_mov_b32_e32 v26, v7
	v_mad_u64_u32 v[7:8], s[4:5], s2, v9, 0
	v_add_u32_e32 v12, 0x190, v47
	global_store_dwordx2 v[0:1], v[13:14], off
	v_mul_hi_u32 v13, v12, s0
	v_mov_b32_e32 v2, v8
	v_mad_u64_u32 v[8:9], s[4:5], s3, v9, v[2:3]
	v_lshrrev_b32_e32 v2, 6, v13
	v_mul_u32_u24_e32 v9, 0x3e8, v2
	v_sub_u32_e32 v9, v12, v9
	v_mad_u32_u24 v14, v2, s6, v9
	v_mad_u64_u32 v[12:13], s[4:5], s2, v14, 0
	v_lshlrev_b64 v[0:1], 3, v[25:26]
	v_add_u32_e32 v9, 0x3e8, v14
	v_add_co_u32_e32 v0, vcc, v43, v0
	v_addc_co_u32_e32 v1, vcc, v44, v1, vcc
	v_mov_b32_e32 v2, v13
	global_store_dwordx2 v[0:1], v[30:31], off
	v_lshlrev_b64 v[0:1], 3, v[7:8]
	v_mad_u64_u32 v[7:8], s[4:5], s3, v14, v[2:3]
	v_add_co_u32_e32 v0, vcc, v43, v0
	v_mov_b32_e32 v13, v7
	v_mad_u64_u32 v[7:8], s[4:5], s2, v9, 0
	v_addc_co_u32_e32 v1, vcc, v44, v1, vcc
	v_mov_b32_e32 v2, v8
	global_store_dwordx2 v[0:1], v[10:11], off
	v_mad_u64_u32 v[8:9], s[4:5], s3, v9, v[2:3]
	v_add_u32_e32 v11, 0x7d0, v14
	v_mad_u64_u32 v[9:10], s[4:5], s2, v11, 0
	v_lshlrev_b64 v[0:1], 3, v[12:13]
	v_add_co_u32_e32 v0, vcc, v43, v0
	v_addc_co_u32_e32 v1, vcc, v44, v1, vcc
	v_mov_b32_e32 v2, v10
	global_store_dwordx2 v[0:1], v[27:28], off
	v_lshlrev_b64 v[0:1], 3, v[7:8]
	v_mad_u64_u32 v[7:8], s[4:5], s3, v11, v[2:3]
	v_add_co_u32_e32 v0, vcc, v43, v0
	v_addc_co_u32_e32 v1, vcc, v44, v1, vcc
	v_mov_b32_e32 v10, v7
	global_store_dwordx2 v[0:1], v[15:16], off
	v_lshlrev_b64 v[0:1], 3, v[9:10]
	v_add_u32_e32 v9, 0xbb8, v14
	v_mad_u64_u32 v[7:8], s[4:5], s2, v9, 0
	v_add_u32_e32 v10, 0x258, v47
	v_mul_hi_u32 v11, v10, s0
	v_mov_b32_e32 v2, v8
	v_mad_u64_u32 v[8:9], s[4:5], s3, v9, v[2:3]
	v_lshrrev_b32_e32 v2, 6, v11
	v_mul_u32_u24_e32 v9, 0x3e8, v2
	v_sub_u32_e32 v9, v10, v9
	v_mad_u32_u24 v11, v2, s6, v9
	v_mad_u64_u32 v[9:10], s[4:5], s2, v11, 0
	v_add_co_u32_e32 v0, vcc, v43, v0
	v_addc_co_u32_e32 v1, vcc, v44, v1, vcc
	v_mov_b32_e32 v2, v10
	global_store_dwordx2 v[0:1], v[17:18], off
	v_lshlrev_b64 v[0:1], 3, v[7:8]
	v_mad_u64_u32 v[7:8], s[4:5], s3, v11, v[2:3]
	v_add_co_u32_e32 v0, vcc, v43, v0
	v_addc_co_u32_e32 v1, vcc, v44, v1, vcc
	v_mov_b32_e32 v10, v7
	v_add_u32_e32 v7, 0x3e8, v11
	global_store_dwordx2 v[0:1], v[5:6], off
	v_mad_u64_u32 v[5:6], s[4:5], s2, v7, 0
	v_lshlrev_b64 v[0:1], 3, v[9:10]
	v_add_u32_e32 v9, 0x7d0, v11
	v_mov_b32_e32 v2, v6
	v_mad_u64_u32 v[6:7], s[4:5], s3, v7, v[2:3]
	v_mad_u64_u32 v[7:8], s[4:5], s2, v9, 0
	v_add_co_u32_e32 v0, vcc, v43, v0
	v_addc_co_u32_e32 v1, vcc, v44, v1, vcc
	v_mov_b32_e32 v2, v8
	global_store_dwordx2 v[0:1], v[66:67], off
	v_lshlrev_b64 v[0:1], 3, v[5:6]
	v_mad_u64_u32 v[5:6], s[4:5], s3, v9, v[2:3]
	v_add_co_u32_e32 v0, vcc, v43, v0
	v_addc_co_u32_e32 v1, vcc, v44, v1, vcc
	v_mov_b32_e32 v8, v5
	global_store_dwordx2 v[0:1], v[45:46], off
	v_lshlrev_b64 v[0:1], 3, v[7:8]
	v_add_u32_e32 v7, 0xbb8, v11
	v_mad_u64_u32 v[5:6], s[4:5], s2, v7, 0
	v_add_co_u32_e32 v0, vcc, v43, v0
	v_mov_b32_e32 v2, v6
	v_mad_u64_u32 v[6:7], s[4:5], s3, v7, v[2:3]
	v_add_u32_e32 v2, 0x320, v47
	v_mul_hi_u32 v7, v2, s0
	v_addc_co_u32_e32 v1, vcc, v44, v1, vcc
	global_store_dwordx2 v[0:1], v[64:65], off
	v_lshlrev_b64 v[0:1], 3, v[5:6]
	v_lshrrev_b32_e32 v5, 6, v7
	v_mul_u32_u24_e32 v6, 0x3e8, v5
	v_sub_u32_e32 v2, v2, v6
	v_mad_u32_u24 v9, v5, s6, v2
	v_mad_u64_u32 v[5:6], s[0:1], s2, v9, 0
	v_add_u32_e32 v10, 0x3e8, v9
	v_add_co_u32_e32 v0, vcc, v43, v0
	v_mov_b32_e32 v2, v6
	v_mad_u64_u32 v[6:7], s[0:1], s3, v9, v[2:3]
	v_mad_u64_u32 v[7:8], s[0:1], s2, v10, 0
	v_addc_co_u32_e32 v1, vcc, v44, v1, vcc
	v_mov_b32_e32 v2, v8
	global_store_dwordx2 v[0:1], v[23:24], off
	v_lshlrev_b64 v[0:1], 3, v[5:6]
	v_mad_u64_u32 v[5:6], s[0:1], s3, v10, v[2:3]
	v_add_co_u32_e32 v0, vcc, v43, v0
	v_addc_co_u32_e32 v1, vcc, v44, v1, vcc
	v_mov_b32_e32 v8, v5
	global_store_dwordx2 v[0:1], v[53:54], off
	v_lshlrev_b64 v[0:1], 3, v[7:8]
	v_add_u32_e32 v7, 0x7d0, v9
	v_mad_u64_u32 v[5:6], s[0:1], s2, v7, 0
	v_add_u32_e32 v9, 0xbb8, v9
	v_add_co_u32_e32 v0, vcc, v43, v0
	v_mov_b32_e32 v2, v6
	v_mad_u64_u32 v[6:7], s[0:1], s3, v7, v[2:3]
	v_mad_u64_u32 v[7:8], s[0:1], s2, v9, 0
	v_addc_co_u32_e32 v1, vcc, v44, v1, vcc
	v_mov_b32_e32 v2, v8
	global_store_dwordx2 v[0:1], v[21:22], off
	v_lshlrev_b64 v[0:1], 3, v[5:6]
	v_mad_u64_u32 v[5:6], s[0:1], s3, v9, v[2:3]
	v_add_co_u32_e32 v0, vcc, v43, v0
	v_addc_co_u32_e32 v1, vcc, v44, v1, vcc
	v_mov_b32_e32 v8, v5
	global_store_dwordx2 v[0:1], v[19:20], off
	v_lshlrev_b64 v[0:1], 3, v[7:8]
	v_add_co_u32_e32 v0, vcc, v43, v0
	v_addc_co_u32_e32 v1, vcc, v44, v1, vcc
	global_store_dwordx2 v[0:1], v[3:4], off
.LBB0_15:
	s_endpgm
	.section	.rodata,"a",@progbits
	.p2align	6, 0x0
	.amdhsa_kernel fft_rtc_back_len4000_factors_10_10_10_4_wgs_200_tpt_200_halfLds_sp_op_CI_CI_sbrr_dirReg
		.amdhsa_group_segment_fixed_size 0
		.amdhsa_private_segment_fixed_size 0
		.amdhsa_kernarg_size 104
		.amdhsa_user_sgpr_count 6
		.amdhsa_user_sgpr_private_segment_buffer 1
		.amdhsa_user_sgpr_dispatch_ptr 0
		.amdhsa_user_sgpr_queue_ptr 0
		.amdhsa_user_sgpr_kernarg_segment_ptr 1
		.amdhsa_user_sgpr_dispatch_id 0
		.amdhsa_user_sgpr_flat_scratch_init 0
		.amdhsa_user_sgpr_private_segment_size 0
		.amdhsa_uses_dynamic_stack 0
		.amdhsa_system_sgpr_private_segment_wavefront_offset 0
		.amdhsa_system_sgpr_workgroup_id_x 1
		.amdhsa_system_sgpr_workgroup_id_y 0
		.amdhsa_system_sgpr_workgroup_id_z 0
		.amdhsa_system_sgpr_workgroup_info 0
		.amdhsa_system_vgpr_workitem_id 0
		.amdhsa_next_free_vgpr 96
		.amdhsa_next_free_sgpr 32
		.amdhsa_reserve_vcc 1
		.amdhsa_reserve_flat_scratch 0
		.amdhsa_float_round_mode_32 0
		.amdhsa_float_round_mode_16_64 0
		.amdhsa_float_denorm_mode_32 3
		.amdhsa_float_denorm_mode_16_64 3
		.amdhsa_dx10_clamp 1
		.amdhsa_ieee_mode 1
		.amdhsa_fp16_overflow 0
		.amdhsa_exception_fp_ieee_invalid_op 0
		.amdhsa_exception_fp_denorm_src 0
		.amdhsa_exception_fp_ieee_div_zero 0
		.amdhsa_exception_fp_ieee_overflow 0
		.amdhsa_exception_fp_ieee_underflow 0
		.amdhsa_exception_fp_ieee_inexact 0
		.amdhsa_exception_int_div_zero 0
	.end_amdhsa_kernel
	.text
.Lfunc_end0:
	.size	fft_rtc_back_len4000_factors_10_10_10_4_wgs_200_tpt_200_halfLds_sp_op_CI_CI_sbrr_dirReg, .Lfunc_end0-fft_rtc_back_len4000_factors_10_10_10_4_wgs_200_tpt_200_halfLds_sp_op_CI_CI_sbrr_dirReg
                                        ; -- End function
	.section	.AMDGPU.csdata,"",@progbits
; Kernel info:
; codeLenInByte = 13020
; NumSgprs: 36
; NumVgprs: 96
; ScratchSize: 0
; MemoryBound: 0
; FloatMode: 240
; IeeeMode: 1
; LDSByteSize: 0 bytes/workgroup (compile time only)
; SGPRBlocks: 4
; VGPRBlocks: 23
; NumSGPRsForWavesPerEU: 36
; NumVGPRsForWavesPerEU: 96
; Occupancy: 2
; WaveLimiterHint : 1
; COMPUTE_PGM_RSRC2:SCRATCH_EN: 0
; COMPUTE_PGM_RSRC2:USER_SGPR: 6
; COMPUTE_PGM_RSRC2:TRAP_HANDLER: 0
; COMPUTE_PGM_RSRC2:TGID_X_EN: 1
; COMPUTE_PGM_RSRC2:TGID_Y_EN: 0
; COMPUTE_PGM_RSRC2:TGID_Z_EN: 0
; COMPUTE_PGM_RSRC2:TIDIG_COMP_CNT: 0
	.type	__hip_cuid_8e4c17b38cfce924,@object ; @__hip_cuid_8e4c17b38cfce924
	.section	.bss,"aw",@nobits
	.globl	__hip_cuid_8e4c17b38cfce924
__hip_cuid_8e4c17b38cfce924:
	.byte	0                               ; 0x0
	.size	__hip_cuid_8e4c17b38cfce924, 1

	.ident	"AMD clang version 19.0.0git (https://github.com/RadeonOpenCompute/llvm-project roc-6.4.0 25133 c7fe45cf4b819c5991fe208aaa96edf142730f1d)"
	.section	".note.GNU-stack","",@progbits
	.addrsig
	.addrsig_sym __hip_cuid_8e4c17b38cfce924
	.amdgpu_metadata
---
amdhsa.kernels:
  - .args:
      - .actual_access:  read_only
        .address_space:  global
        .offset:         0
        .size:           8
        .value_kind:     global_buffer
      - .offset:         8
        .size:           8
        .value_kind:     by_value
      - .actual_access:  read_only
        .address_space:  global
        .offset:         16
        .size:           8
        .value_kind:     global_buffer
      - .actual_access:  read_only
        .address_space:  global
        .offset:         24
        .size:           8
        .value_kind:     global_buffer
      - .actual_access:  read_only
        .address_space:  global
        .offset:         32
        .size:           8
        .value_kind:     global_buffer
      - .offset:         40
        .size:           8
        .value_kind:     by_value
      - .actual_access:  read_only
        .address_space:  global
        .offset:         48
        .size:           8
        .value_kind:     global_buffer
      - .actual_access:  read_only
        .address_space:  global
        .offset:         56
        .size:           8
        .value_kind:     global_buffer
      - .offset:         64
        .size:           4
        .value_kind:     by_value
      - .actual_access:  read_only
        .address_space:  global
        .offset:         72
        .size:           8
        .value_kind:     global_buffer
      - .actual_access:  read_only
        .address_space:  global
        .offset:         80
        .size:           8
        .value_kind:     global_buffer
      - .actual_access:  read_only
        .address_space:  global
        .offset:         88
        .size:           8
        .value_kind:     global_buffer
      - .actual_access:  write_only
        .address_space:  global
        .offset:         96
        .size:           8
        .value_kind:     global_buffer
    .group_segment_fixed_size: 0
    .kernarg_segment_align: 8
    .kernarg_segment_size: 104
    .language:       OpenCL C
    .language_version:
      - 2
      - 0
    .max_flat_workgroup_size: 200
    .name:           fft_rtc_back_len4000_factors_10_10_10_4_wgs_200_tpt_200_halfLds_sp_op_CI_CI_sbrr_dirReg
    .private_segment_fixed_size: 0
    .sgpr_count:     36
    .sgpr_spill_count: 0
    .symbol:         fft_rtc_back_len4000_factors_10_10_10_4_wgs_200_tpt_200_halfLds_sp_op_CI_CI_sbrr_dirReg.kd
    .uniform_work_group_size: 1
    .uses_dynamic_stack: false
    .vgpr_count:     96
    .vgpr_spill_count: 0
    .wavefront_size: 64
amdhsa.target:   amdgcn-amd-amdhsa--gfx906
amdhsa.version:
  - 1
  - 2
...

	.end_amdgpu_metadata
